;; amdgpu-corpus repo=ROCm/rocFFT kind=compiled arch=gfx1100 opt=O3
	.text
	.amdgcn_target "amdgcn-amd-amdhsa--gfx1100"
	.amdhsa_code_object_version 6
	.protected	bluestein_single_fwd_len880_dim1_sp_op_CI_CI ; -- Begin function bluestein_single_fwd_len880_dim1_sp_op_CI_CI
	.globl	bluestein_single_fwd_len880_dim1_sp_op_CI_CI
	.p2align	8
	.type	bluestein_single_fwd_len880_dim1_sp_op_CI_CI,@function
bluestein_single_fwd_len880_dim1_sp_op_CI_CI: ; @bluestein_single_fwd_len880_dim1_sp_op_CI_CI
; %bb.0:
	s_load_b128 s[16:19], s[0:1], 0x28
	v_mul_u32_u24_e32 v1, 0x2e9, v0
	v_mov_b32_e32 v57, 0
	s_mov_b32 s2, exec_lo
	s_delay_alu instid0(VALU_DEP_2) | instskip(NEXT) | instid1(VALU_DEP_1)
	v_lshrrev_b32_e32 v1, 16, v1
	v_lshl_add_u32 v56, s15, 1, v1
	s_waitcnt lgkmcnt(0)
	s_delay_alu instid0(VALU_DEP_1)
	v_cmpx_gt_u64_e64 s[16:17], v[56:57]
	s_cbranch_execz .LBB0_10
; %bb.1:
	s_clause 0x1
	s_load_b128 s[4:7], s[0:1], 0x18
	s_load_b128 s[8:11], s[0:1], 0x0
	v_mul_lo_u16 v2, 0x58, v1
                                        ; implicit-def: $vgpr46
	s_delay_alu instid0(VALU_DEP_1) | instskip(NEXT) | instid1(VALU_DEP_1)
	v_sub_nc_u16 v0, v0, v2
	v_and_b32_e32 v79, 0xffff, v0
	s_waitcnt lgkmcnt(0)
	s_load_b128 s[12:15], s[4:5], 0x0
	s_waitcnt lgkmcnt(0)
	v_mad_u64_u32 v[2:3], null, s14, v56, 0
	v_mad_u64_u32 v[4:5], null, s12, v79, 0
	s_mul_hi_u32 s3, s12, 0xdc0
	s_mul_i32 s4, s12, 0xdc0
	s_mul_i32 s5, s13, 0xfffff500
	;; [unrolled: 1-line block ×3, first 2 shown]
	s_delay_alu instid0(VALU_DEP_1) | instskip(NEXT) | instid1(VALU_DEP_1)
	v_mad_u64_u32 v[6:7], null, s15, v56, v[3:4]
	v_dual_mov_b32 v3, v6 :: v_dual_lshlrev_b32 v28, 3, v79
	s_delay_alu instid0(VALU_DEP_3) | instskip(NEXT) | instid1(VALU_DEP_2)
	v_mad_u64_u32 v[7:8], null, s13, v79, v[5:6]
	v_add_co_u32 v9, s2, s8, v28
	s_delay_alu instid0(VALU_DEP_1) | instskip(NEXT) | instid1(VALU_DEP_4)
	v_add_co_ci_u32_e64 v10, null, s9, 0, s2
	v_lshlrev_b64 v[2:3], 3, v[2:3]
	s_delay_alu instid0(VALU_DEP_3) | instskip(SKIP_1) | instid1(VALU_DEP_4)
	v_add_co_u32 v8, vcc_lo, 0x1000, v9
	v_mov_b32_e32 v5, v7
	v_add_co_ci_u32_e32 v9, vcc_lo, 0, v10, vcc_lo
	s_delay_alu instid0(VALU_DEP_4) | instskip(NEXT) | instid1(VALU_DEP_3)
	v_add_co_u32 v2, vcc_lo, s18, v2
	v_lshlrev_b64 v[4:5], 3, v[4:5]
	v_add_co_ci_u32_e32 v3, vcc_lo, s19, v3, vcc_lo
	s_mul_i32 s2, s13, 0xdc0
	s_mul_hi_u32 s13, s12, 0xfffff500
	s_add_i32 s3, s3, s2
	s_delay_alu instid0(VALU_DEP_2) | instskip(SKIP_2) | instid1(VALU_DEP_2)
	v_add_co_u32 v2, vcc_lo, v2, v4
	v_add_co_ci_u32_e32 v3, vcc_lo, v3, v5, vcc_lo
	s_sub_i32 s2, s13, s12
	v_add_co_u32 v4, vcc_lo, v2, s4
	s_delay_alu instid0(VALU_DEP_2) | instskip(SKIP_1) | instid1(VALU_DEP_2)
	v_add_co_ci_u32_e32 v5, vcc_lo, s3, v3, vcc_lo
	s_add_i32 s2, s2, s5
	v_add_co_u32 v6, vcc_lo, v4, s14
	s_delay_alu instid0(VALU_DEP_2)
	v_add_co_ci_u32_e32 v7, vcc_lo, s2, v5, vcc_lo
	global_load_b64 v[65:66], v28, s[8:9] offset:3520
	v_add_co_u32 v10, vcc_lo, v6, s4
	v_add_co_ci_u32_e32 v11, vcc_lo, s3, v7, vcc_lo
	s_clause 0x6
	global_load_b64 v[75:76], v28, s[8:9]
	global_load_b64 v[57:58], v28, s[8:9] offset:704
	global_load_b64 v[59:60], v28, s[8:9] offset:1408
	;; [unrolled: 1-line block ×3, first 2 shown]
	global_load_b64 v[73:74], v[8:9], off offset:128
	global_load_b64 v[67:68], v[8:9], off offset:832
	;; [unrolled: 1-line block ×3, first 2 shown]
	s_clause 0x1
	global_load_b64 v[12:13], v[2:3], off
	global_load_b64 v[14:15], v[4:5], off
	v_add_co_u32 v2, vcc_lo, v10, s14
	v_add_co_ci_u32_e32 v3, vcc_lo, s2, v11, vcc_lo
	s_clause 0x1
	global_load_b64 v[5:6], v[6:7], off
	global_load_b64 v[10:11], v[10:11], off
	v_add_co_u32 v16, vcc_lo, v2, s4
	v_add_co_ci_u32_e32 v17, vcc_lo, s3, v3, vcc_lo
	global_load_b64 v[18:19], v[2:3], off
	v_add_co_u32 v2, vcc_lo, v16, s14
	v_add_co_ci_u32_e32 v3, vcc_lo, s2, v17, vcc_lo
	;; [unrolled: 3-line block ×5, first 2 shown]
	global_load_b64 v[69:70], v28, s[8:9] offset:2816
	global_load_b64 v[26:27], v[2:3], off
	global_load_b64 v[71:72], v[8:9], off offset:2240
	global_load_b64 v[7:8], v[24:25], off
	v_and_b32_e32 v1, 1, v1
	s_load_b128 s[4:7], s[6:7], 0x0
	s_load_b64 s[2:3], s[0:1], 0x38
	s_delay_alu instid0(VALU_DEP_1) | instskip(SKIP_3) | instid1(VALU_DEP_2)
	v_cmp_eq_u32_e32 vcc_lo, 1, v1
	v_cndmask_b32_e64 v1, 0, 0x370, vcc_lo
	v_cmp_gt_u16_e32 vcc_lo, 0x50, v0
	s_waitcnt vmcnt(10)
	v_dual_mul_f32 v24, v15, v66 :: v_dual_lshlrev_b32 v81, 3, v1
	v_mul_f32_e32 v9, v14, v66
	v_mul_f32_e32 v29, v12, v76
	v_add_co_u32 v91, null, 0x58, v79
	s_delay_alu instid0(VALU_DEP_4)
	v_fmac_f32_e32 v24, v14, v65
	s_waitcnt vmcnt(9)
	v_mul_f32_e32 v14, v6, v58
	v_add_nc_u32_e32 v80, v81, v28
	v_mul_f32_e32 v28, v13, v76
	v_fma_f32 v29, v13, v75, -v29
	s_waitcnt vmcnt(8)
	v_dual_mul_f32 v13, v10, v74 :: v_dual_fmac_f32 v14, v5, v57
	s_delay_alu instid0(VALU_DEP_3) | instskip(SKIP_4) | instid1(VALU_DEP_4)
	v_dual_fmac_f32 v28, v12, v75 :: v_dual_add_nc_u32 v1, 0x1000, v80
	v_dual_mul_f32 v12, v5, v58 :: v_dual_add_nc_u32 v3, 0x400, v80
	v_dual_mul_f32 v5, v11, v74 :: v_dual_add_nc_u32 v4, 0x1400, v80
	v_add_nc_u32_e32 v2, 0x800, v80
	v_fma_f32 v25, v15, v65, -v9
	v_fma_f32 v15, v6, v57, -v12
	;; [unrolled: 1-line block ×3, first 2 shown]
	s_waitcnt vmcnt(6)
	v_mul_f32_e32 v11, v17, v68
	v_mul_f32_e32 v12, v18, v60
	;; [unrolled: 1-line block ×3, first 2 shown]
	v_fmac_f32_e32 v5, v10, v73
	ds_store_b64 v80, v[24:25] offset:3520
	v_fmac_f32_e32 v11, v16, v67
	v_fma_f32 v10, v19, v59, -v12
	v_mul_f32_e32 v12, v16, v68
	s_waitcnt vmcnt(4)
	v_dual_mul_f32 v16, v21, v62 :: v_dual_mul_f32 v13, v22, v64
	v_dual_fmac_f32 v9, v18, v59 :: v_dual_mul_f32 v18, v23, v64
	s_waitcnt vmcnt(0)
	v_mul_f32_e32 v24, v7, v72
	s_delay_alu instid0(VALU_DEP_3)
	v_fmac_f32_e32 v16, v20, v61
	v_fma_f32 v19, v23, v63, -v13
	v_mul_f32_e32 v13, v20, v62
	v_mul_f32_e32 v20, v27, v70
	;; [unrolled: 1-line block ×3, first 2 shown]
	v_fmac_f32_e32 v18, v22, v63
	v_mul_f32_e32 v22, v8, v72
	v_fma_f32 v12, v17, v67, -v12
	v_fma_f32 v17, v21, v61, -v13
	v_fmac_f32_e32 v20, v26, v69
	v_fma_f32 v21, v27, v69, -v23
	v_fmac_f32_e32 v22, v7, v71
	v_fma_f32 v23, v8, v71, -v24
	ds_store_2addr_b64 v80, v[28:29], v[14:15] offset1:88
	ds_store_2addr_b64 v1, v[5:6], v[11:12] offset0:16 offset1:104
	ds_store_2addr_b64 v3, v[9:10], v[18:19] offset0:48 offset1:136
	ds_store_b64 v80, v[20:21] offset:2816
	ds_store_2addr_b64 v4, v[16:17], v[22:23] offset0:64 offset1:152
	s_waitcnt lgkmcnt(0)
	s_barrier
	buffer_gl0_inv
	ds_load_2addr_b64 v[6:9], v80 offset1:88
	ds_load_2addr_b64 v[10:13], v2 offset0:96 offset1:184
	ds_load_2addr_b64 v[14:17], v1 offset0:16 offset1:104
	ds_load_2addr_b64 v[18:21], v3 offset0:48 offset1:136
	ds_load_2addr_b64 v[22:25], v4 offset0:64 offset1:152
	v_lshlrev_b32_e32 v5, 1, v79
	v_and_b32_e32 v36, 1, v79
	v_lshl_add_u32 v48, v79, 4, v81
	v_lshl_add_u32 v52, v91, 4, v81
	s_waitcnt lgkmcnt(0)
	v_add_nc_u32_e32 v39, 0x2c0, v5
	v_add_nc_u32_e32 v37, 0x160, v5
	;; [unrolled: 1-line block ×3, first 2 shown]
	s_barrier
	buffer_gl0_inv
	v_lshl_add_u32 v51, v37, 3, v81
	v_dual_sub_f32 v26, v6, v12 :: v_dual_sub_f32 v27, v7, v13
	v_dual_sub_f32 v23, v21, v23 :: v_dual_sub_f32 v14, v8, v14
	v_sub_f32_e32 v35, v11, v25
	v_dual_sub_f32 v15, v9, v15 :: v_dual_lshlrev_b32 v40, 3, v36
	v_dual_sub_f32 v31, v19, v17 :: v_dual_sub_f32 v30, v18, v16
	v_sub_f32_e32 v22, v20, v22
	v_sub_f32_e32 v34, v10, v24
	v_fma_f32 v24, v6, 2.0, -v26
	v_fma_f32 v25, v7, 2.0, -v27
	;; [unrolled: 1-line block ×6, first 2 shown]
	v_lshl_add_u32 v50, v38, 3, v81
	v_fma_f32 v20, v20, 2.0, -v22
	v_fma_f32 v21, v21, 2.0, -v23
	v_lshl_add_u32 v49, v39, 3, v81
	v_fma_f32 v32, v10, 2.0, -v34
	v_fma_f32 v33, v11, 2.0, -v35
	ds_store_b128 v48, v[24:27]
	ds_store_b128 v52, v[12:15]
	;; [unrolled: 1-line block ×5, first 2 shown]
	s_waitcnt lgkmcnt(0)
	s_barrier
	buffer_gl0_inv
	global_load_b64 v[40:41], v40, s[10:11]
	ds_load_2addr_b64 v[6:9], v2 offset0:96 offset1:184
	ds_load_2addr_b64 v[10:13], v1 offset0:16 offset1:104
	;; [unrolled: 1-line block ×3, first 2 shown]
	v_lshlrev_b32_e32 v27, 1, v91
	v_and_or_b32 v18, 0xfc, v5, v36
	v_and_or_b32 v20, 0x3fc, v37, v36
	;; [unrolled: 1-line block ×5, first 2 shown]
	v_lshl_add_u32 v85, v18, 3, v81
	v_lshl_add_u32 v55, v20, 3, v81
	;; [unrolled: 1-line block ×5, first 2 shown]
	ds_load_2addr_b64 v[18:21], v80 offset1:88
	ds_load_2addr_b64 v[22:25], v3 offset0:48 offset1:136
	v_and_b32_e32 v26, 3, v79
	s_waitcnt vmcnt(0) lgkmcnt(0)
	s_barrier
	buffer_gl0_inv
	v_mul_f32_e32 v33, v13, v41
	v_mul_f32_e32 v43, v16, v41
	;; [unrolled: 1-line block ×4, first 2 shown]
	v_dual_mul_f32 v31, v11, v41 :: v_dual_lshlrev_b32 v28, 3, v26
	v_mul_f32_e32 v35, v15, v41
	v_fmac_f32_e32 v43, v17, v40
	v_fmac_f32_e32 v30, v9, v40
	v_mul_f32_e32 v32, v10, v41
	v_mul_f32_e32 v42, v17, v41
	v_fma_f32 v8, v8, v40, -v29
	v_sub_f32_e32 v17, v7, v43
	v_sub_f32_e32 v9, v19, v30
	v_fmac_f32_e32 v32, v11, v40
	v_mul_f32_e32 v34, v12, v41
	v_fma_f32 v10, v10, v40, -v31
	v_fma_f32 v12, v12, v40, -v33
	;; [unrolled: 1-line block ×3, first 2 shown]
	v_sub_f32_e32 v11, v21, v32
	v_fmac_f32_e32 v34, v13, v40
	v_mul_f32_e32 v36, v14, v41
	v_fma_f32 v14, v14, v40, -v35
	v_sub_f32_e32 v8, v18, v8
	s_delay_alu instid0(VALU_DEP_4) | instskip(NEXT) | instid1(VALU_DEP_4)
	v_dual_sub_f32 v12, v22, v12 :: v_dual_sub_f32 v13, v23, v34
	v_fmac_f32_e32 v36, v15, v40
	v_sub_f32_e32 v10, v20, v10
	v_sub_f32_e32 v14, v24, v14
	;; [unrolled: 1-line block ×3, first 2 shown]
	v_fma_f32 v18, v18, 2.0, -v8
	v_sub_f32_e32 v15, v25, v36
	v_fma_f32 v19, v19, 2.0, -v9
	v_fma_f32 v20, v20, 2.0, -v10
	;; [unrolled: 1-line block ×9, first 2 shown]
	ds_store_2addr_b64 v85, v[18:19], v[8:9] offset1:2
	ds_store_2addr_b64 v84, v[20:21], v[10:11] offset1:2
	ds_store_2addr_b64 v55, v[22:23], v[12:13] offset1:2
	ds_store_2addr_b64 v54, v[24:25], v[14:15] offset1:2
	ds_store_2addr_b64 v53, v[6:7], v[16:17] offset1:2
	s_waitcnt lgkmcnt(0)
	s_barrier
	buffer_gl0_inv
	global_load_b64 v[42:43], v28, s[10:11] offset:16
	ds_load_2addr_b64 v[6:9], v2 offset0:96 offset1:184
	ds_load_2addr_b64 v[10:13], v1 offset0:16 offset1:104
	;; [unrolled: 1-line block ×3, first 2 shown]
	v_and_or_b32 v18, 0xf8, v5, v26
	v_and_or_b32 v19, 0x1f8, v27, v26
	;; [unrolled: 1-line block ×5, first 2 shown]
	v_lshl_add_u32 v90, v18, 3, v81
	v_lshl_add_u32 v89, v19, 3, v81
	;; [unrolled: 1-line block ×5, first 2 shown]
	ds_load_2addr_b64 v[18:21], v80 offset1:88
	ds_load_2addr_b64 v[22:25], v3 offset0:48 offset1:136
	s_waitcnt vmcnt(0) lgkmcnt(0)
	s_barrier
	buffer_gl0_inv
	v_mul_f32_e32 v34, v12, v43
	v_mul_f32_e32 v36, v14, v43
	;; [unrolled: 1-line block ×5, first 2 shown]
	v_fmac_f32_e32 v34, v13, v42
	v_mul_f32_e32 v26, v9, v43
	v_fmac_f32_e32 v36, v15, v42
	v_dual_mul_f32 v30, v8, v43 :: v_dual_fmac_f32 v45, v17, v42
	v_mul_f32_e32 v32, v10, v43
	v_mul_f32_e32 v35, v15, v43
	v_dual_mul_f32 v44, v17, v43 :: v_dual_sub_f32 v13, v23, v34
	v_fma_f32 v8, v8, v42, -v26
	v_sub_f32_e32 v15, v25, v36
	v_fmac_f32_e32 v30, v9, v42
	v_fma_f32 v10, v10, v42, -v31
	v_sub_f32_e32 v17, v7, v45
	v_fmac_f32_e32 v32, v11, v42
	v_fma_f32 v12, v12, v42, -v33
	v_fma_f32 v14, v14, v42, -v35
	;; [unrolled: 1-line block ×3, first 2 shown]
	s_delay_alu instid0(VALU_DEP_4)
	v_dual_sub_f32 v11, v21, v32 :: v_dual_and_b32 v28, 7, v79
	v_dual_sub_f32 v8, v18, v8 :: v_dual_sub_f32 v9, v19, v30
	v_sub_f32_e32 v10, v20, v10
	v_sub_f32_e32 v12, v22, v12
	;; [unrolled: 1-line block ×4, first 2 shown]
	v_lshlrev_b32_e32 v29, 3, v28
	v_fma_f32 v18, v18, 2.0, -v8
	v_fma_f32 v19, v19, 2.0, -v9
	;; [unrolled: 1-line block ×10, first 2 shown]
	ds_store_2addr_b64 v90, v[18:19], v[8:9] offset1:4
	ds_store_2addr_b64 v89, v[20:21], v[10:11] offset1:4
	;; [unrolled: 1-line block ×5, first 2 shown]
	s_waitcnt lgkmcnt(0)
	s_barrier
	buffer_gl0_inv
	global_load_b64 v[44:45], v29, s[10:11] offset:48
	ds_load_2addr_b64 v[6:9], v2 offset0:96 offset1:184
	ds_load_2addr_b64 v[10:13], v1 offset0:16 offset1:104
	;; [unrolled: 1-line block ×3, first 2 shown]
	v_and_or_b32 v0, 0xf0, v5, v28
	v_and_or_b32 v5, 0x1f0, v27, v28
	ds_load_2addr_b64 v[24:27], v80 offset1:88
	ds_load_2addr_b64 v[97:100], v3 offset0:48 offset1:136
	v_and_or_b32 v4, 0x3f0, v37, v28
	v_and_or_b32 v18, 0x3f0, v38, v28
	;; [unrolled: 1-line block ×3, first 2 shown]
	v_lshl_add_u32 v96, v0, 3, v81
	v_lshl_add_u32 v95, v5, 3, v81
	;; [unrolled: 1-line block ×5, first 2 shown]
	s_waitcnt vmcnt(0) lgkmcnt(0)
	s_barrier
	buffer_gl0_inv
	v_mul_f32_e32 v28, v16, v45
	v_mul_f32_e32 v3, v8, v45
	;; [unrolled: 1-line block ×9, first 2 shown]
	v_fmac_f32_e32 v28, v17, v44
	v_mul_f32_e32 v0, v9, v45
	v_fmac_f32_e32 v3, v9, v44
	v_fma_f32 v4, v10, v44, -v4
	v_fmac_f32_e32 v5, v11, v44
	v_sub_f32_e32 v35, v7, v28
	v_fma_f32 v0, v8, v44, -v0
	v_fma_f32 v8, v12, v44, -v18
	v_fmac_f32_e32 v20, v13, v44
	v_fma_f32 v9, v14, v44, -v19
	v_fmac_f32_e32 v21, v15, v44
	v_fma_f32 v10, v16, v44, -v22
	v_dual_sub_f32 v18, v24, v0 :: v_dual_sub_f32 v19, v25, v3
	v_dual_sub_f32 v30, v26, v4 :: v_dual_sub_f32 v31, v27, v5
	v_sub_f32_e32 v22, v97, v8
	v_dual_sub_f32 v23, v98, v20 :: v_dual_sub_f32 v38, v99, v9
	v_dual_sub_f32 v39, v100, v21 :: v_dual_sub_f32 v34, v6, v10
	v_fma_f32 v16, v24, 2.0, -v18
	v_fma_f32 v17, v25, 2.0, -v19
	;; [unrolled: 1-line block ×10, first 2 shown]
	ds_store_2addr_b64 v96, v[16:17], v[18:19] offset1:8
	ds_store_2addr_b64 v95, v[28:29], v[30:31] offset1:8
	;; [unrolled: 1-line block ×5, first 2 shown]
	s_waitcnt lgkmcnt(0)
	s_barrier
	buffer_gl0_inv
	s_and_saveexec_b32 s0, vcc_lo
	s_cbranch_execz .LBB0_3
; %bb.2:
	v_add_nc_u32_e32 v0, 0xc00, v80
	ds_load_2addr_b64 v[16:19], v80 offset1:80
	ds_load_2addr_b64 v[28:31], v80 offset0:160 offset1:240
	ds_load_2addr_b64 v[20:23], v2 offset0:64 offset1:144
	;; [unrolled: 1-line block ×4, first 2 shown]
	ds_load_b64 v[46:47], v80 offset:6400
.LBB0_3:
	s_or_b32 exec_lo, exec_lo, s0
	v_and_b32_e32 v82, 15, v79
	s_delay_alu instid0(VALU_DEP_1)
	v_mad_u64_u32 v[24:25], null, 0x50, v82, s[10:11]
	s_clause 0x4
	global_load_b128 v[12:15], v[24:25], off offset:112
	global_load_b128 v[4:7], v[24:25], off offset:128
	;; [unrolled: 1-line block ×5, first 2 shown]
	s_waitcnt vmcnt(0) lgkmcnt(0)
	s_barrier
	buffer_gl0_inv
	v_mul_f32_e32 v77, v19, v13
	v_dual_mul_f32 v107, v18, v13 :: v_dual_mul_f32 v78, v29, v15
	v_dual_mul_f32 v105, v28, v15 :: v_dual_mul_f32 v104, v30, v5
	;; [unrolled: 1-line block ×8, first 2 shown]
	v_dual_mul_f32 v97, v46, v27 :: v_dual_fmac_f32 v104, v31, v4
	v_fma_f32 v112, v18, v12, -v77
	v_dual_fmac_f32 v105, v29, v14 :: v_dual_fmac_f32 v102, v23, v0
	v_fma_f32 v109, v20, v6, -v106
	v_fma_f32 v106, v36, v2, -v113
	v_dual_fmac_f32 v101, v37, v2 :: v_dual_fmac_f32 v98, v35, v24
	v_fmac_f32_e32 v107, v19, v12
	v_fma_f32 v36, v32, v10, -v115
	v_fma_f32 v32, v46, v26, -v117
	v_fmac_f32_e32 v97, v47, v26
	v_fmac_f32_e32 v99, v33, v10
	v_dual_mul_f32 v103, v20, v7 :: v_dual_mul_f32 v108, v23, v1
	v_fma_f32 v111, v28, v14, -v78
	v_fma_f32 v110, v30, v4, -v83
	;; [unrolled: 1-line block ×4, first 2 shown]
	v_add_f32_e32 v18, v112, v32
	v_sub_f32_e32 v124, v112, v32
	v_add_f32_e32 v28, v105, v98
	v_dual_sub_f32 v116, v107, v97 :: v_dual_sub_f32 v117, v105, v98
	v_dual_sub_f32 v118, v104, v99 :: v_dual_sub_f32 v123, v109, v37
	v_dual_fmac_f32 v103, v21, v6 :: v_dual_fmac_f32 v100, v39, v8
	v_dual_add_f32 v19, v111, v33 :: v_dual_sub_f32 v122, v110, v36
	v_dual_sub_f32 v126, v111, v33 :: v_dual_add_f32 v21, v110, v36
	s_delay_alu instid0(VALU_DEP_4) | instskip(SKIP_3) | instid1(VALU_DEP_4)
	v_dual_sub_f32 v121, v102, v101 :: v_dual_mul_f32 v38, 0xbf7d64f0, v118
	v_mul_f32_e32 v47, 0xbf0a6770, v116
	v_dual_add_f32 v31, v107, v97 :: v_dual_add_f32 v30, v104, v99
	v_mul_f32_e32 v113, 0xbf7d64f0, v122
	v_fmamk_f32 v127, v21, 0xbe11bafb, v38
	v_mul_f32_e32 v39, 0xbf68dda4, v117
	v_fmamk_f32 v34, v18, 0x3f575c64, v47
	v_fma_f32 v108, v22, v0, -v108
	v_fma_f32 v128, 0xbe11bafb, v30, -v113
	v_sub_f32_e32 v120, v103, v100
	v_fmamk_f32 v78, v19, 0x3ed4b147, v39
	v_dual_add_f32 v114, v16, v34 :: v_dual_mul_f32 v119, 0xbf0a6770, v124
	v_dual_mul_f32 v115, 0xbf68dda4, v126 :: v_dual_add_f32 v20, v109, v37
	v_add_f32_e32 v23, v108, v106
	s_delay_alu instid0(VALU_DEP_3) | instskip(NEXT) | instid1(VALU_DEP_4)
	v_add_f32_e32 v78, v78, v114
	v_fma_f32 v77, 0x3f575c64, v31, -v119
	v_sub_f32_e32 v125, v108, v106
	v_dual_mul_f32 v35, 0xbf4178ce, v120 :: v_dual_mul_f32 v46, 0xbf4178ce, v123
	v_fma_f32 v83, 0x3ed4b147, v28, -v115
	s_delay_alu instid0(VALU_DEP_4) | instskip(SKIP_2) | instid1(VALU_DEP_3)
	v_dual_add_f32 v77, v17, v77 :: v_dual_add_f32 v22, v103, v100
	v_dual_add_f32 v29, v102, v101 :: v_dual_add_f32 v78, v127, v78
	v_mul_f32_e32 v114, 0xbe903f40, v125
	v_add_f32_e32 v77, v83, v77
	v_fmamk_f32 v83, v20, 0xbf27a4f4, v35
	v_fma_f32 v129, 0xbf27a4f4, v22, -v46
	s_delay_alu instid0(VALU_DEP_2) | instskip(SKIP_2) | instid1(VALU_DEP_3)
	v_dual_add_f32 v77, v128, v77 :: v_dual_add_f32 v78, v83, v78
	v_mul_f32_e32 v34, 0xbe903f40, v121
	v_fma_f32 v128, 0xbf75a155, v29, -v114
	v_add_f32_e32 v83, v129, v77
	s_delay_alu instid0(VALU_DEP_3) | instskip(NEXT) | instid1(VALU_DEP_1)
	v_fmamk_f32 v127, v23, 0xbf75a155, v34
	v_dual_add_f32 v77, v127, v78 :: v_dual_add_f32 v78, v128, v83
	v_lshrrev_b32_e32 v83, 4, v79
	s_and_saveexec_b32 s0, vcc_lo
	s_cbranch_execz .LBB0_5
; %bb.4:
	v_mul_f32_e32 v145, 0xbf7d64f0, v116
	v_mul_f32_e32 v152, 0xbf0a6770, v120
	v_dual_mul_f32 v133, 0xbe11bafb, v31 :: v_dual_mul_f32 v140, 0xbe11bafb, v21
	v_mul_f32_e32 v148, 0x3e903f40, v117
	s_delay_alu instid0(VALU_DEP_4) | instskip(NEXT) | instid1(VALU_DEP_4)
	v_fmamk_f32 v129, v18, 0xbe11bafb, v145
	v_dual_mul_f32 v134, 0x3f575c64, v28 :: v_dual_fmamk_f32 v153, v20, 0x3f575c64, v152
	v_mul_f32_e32 v157, 0x3f0a6770, v117
	s_delay_alu instid0(VALU_DEP_4) | instskip(NEXT) | instid1(VALU_DEP_4)
	v_dual_mul_f32 v147, 0xbf75a155, v23 :: v_dual_fmamk_f32 v130, v19, 0xbf75a155, v148
	v_dual_add_f32 v129, v16, v129 :: v_dual_mul_f32 v150, 0x3f68dda4, v118
	v_fmamk_f32 v127, v124, 0x3f7d64f0, v133
	v_mul_f32_e32 v138, 0xbf75a155, v28
	v_fmamk_f32 v160, v19, 0x3f575c64, v157
	v_mul_f32_e32 v131, 0xbf75a155, v31
	v_dual_mul_f32 v137, 0x3ed4b147, v19 :: v_dual_mul_f32 v142, 0x3ed4b147, v30
	v_add_f32_e32 v127, v17, v127
	v_mul_f32_e32 v151, 0xbf27a4f4, v29
	s_delay_alu instid0(VALU_DEP_4) | instskip(SKIP_4) | instid1(VALU_DEP_4)
	v_fmamk_f32 v132, v124, 0x3e903f40, v131
	v_fmamk_f32 v128, v126, 0xbe903f40, v138
	v_dual_mul_f32 v154, 0xbf4178ce, v121 :: v_dual_mul_f32 v161, 0xbf4178ce, v118
	v_mul_f32_e32 v163, 0x3f68dda4, v125
	v_dual_mul_f32 v135, 0x3f575c64, v18 :: v_dual_mul_f32 v136, 0x3f575c64, v31
	v_dual_add_f32 v127, v128, v127 :: v_dual_fmamk_f32 v128, v122, 0xbf68dda4, v142
	v_mul_f32_e32 v146, 0x3f575c64, v22
	v_fmamk_f32 v158, v23, 0xbf27a4f4, v154
	v_fmac_f32_e32 v142, 0x3f68dda4, v122
	s_delay_alu instid0(VALU_DEP_4) | instskip(NEXT) | instid1(VALU_DEP_4)
	v_dual_fmamk_f32 v166, v29, 0x3ed4b147, v163 :: v_dual_add_f32 v127, v128, v127
	v_fmamk_f32 v128, v123, 0x3f0a6770, v146
	v_dual_mul_f32 v165, 0xbf0a6770, v118 :: v_dual_fmac_f32 v146, 0xbf0a6770, v123
	v_fmac_f32_e32 v133, 0xbf7d64f0, v124
	v_dual_mul_f32 v118, 0x3e903f40, v118 :: v_dual_add_f32 v119, v119, v136
	s_delay_alu instid0(VALU_DEP_4) | instskip(SKIP_1) | instid1(VALU_DEP_4)
	v_dual_add_f32 v127, v128, v127 :: v_dual_add_f32 v128, v130, v129
	v_fmamk_f32 v129, v21, 0x3ed4b147, v150
	v_add_f32_e32 v133, v17, v133
	v_fma_f32 v148, 0xbf75a155, v19, -v148
	v_dual_mul_f32 v143, 0xbf27a4f4, v20 :: v_dual_mul_f32 v144, 0xbf27a4f4, v22
	s_delay_alu instid0(VALU_DEP_4) | instskip(SKIP_2) | instid1(VALU_DEP_3)
	v_add_f32_e32 v129, v129, v128
	v_dual_sub_f32 v39, v137, v39 :: v_dual_sub_f32 v34, v147, v34
	v_dual_fmac_f32 v138, 0x3e903f40, v126 :: v_dual_add_f32 v107, v17, v107
	v_add_f32_e32 v129, v153, v129
	v_fmamk_f32 v130, v125, 0x3f4178ce, v151
	v_mul_f32_e32 v139, 0x3ed4b147, v28
	s_delay_alu instid0(VALU_DEP_4) | instskip(NEXT) | instid1(VALU_DEP_3)
	v_dual_add_f32 v133, v138, v133 :: v_dual_add_f32 v112, v16, v112
	v_dual_add_f32 v105, v107, v105 :: v_dual_add_f32 v128, v130, v127
	v_dual_add_f32 v127, v17, v132 :: v_dual_fmamk_f32 v130, v126, 0xbf0a6770, v134
	v_mul_f32_e32 v132, 0xbf27a4f4, v30
	v_fmac_f32_e32 v134, 0x3f0a6770, v126
	v_dual_add_f32 v142, v142, v133 :: v_dual_add_f32 v107, v112, v111
	s_delay_alu instid0(VALU_DEP_4) | instskip(NEXT) | instid1(VALU_DEP_4)
	v_dual_add_f32 v104, v105, v104 :: v_dual_add_f32 v127, v130, v127
	v_fmamk_f32 v130, v122, 0x3f4178ce, v132
	v_mul_f32_e32 v141, 0xbe11bafb, v30
	v_fmac_f32_e32 v132, 0xbf4178ce, v122
	v_add_f32_e32 v142, v146, v142
	s_delay_alu instid0(VALU_DEP_4)
	v_dual_add_f32 v105, v107, v110 :: v_dual_add_f32 v130, v130, v127
	v_dual_add_f32 v127, v158, v129 :: v_dual_mul_f32 v158, 0x3f68dda4, v120
	v_mul_f32_e32 v155, 0x3ed4b147, v22
	v_sub_f32_e32 v47, v135, v47
	v_dual_add_f32 v107, v113, v141 :: v_dual_sub_f32 v38, v140, v38
	v_add_f32_e32 v103, v104, v103
	s_delay_alu instid0(VALU_DEP_4) | instskip(SKIP_1) | instid1(VALU_DEP_2)
	v_dual_fmamk_f32 v159, v123, 0xbf68dda4, v155 :: v_dual_add_f32 v104, v105, v109
	v_dual_add_f32 v115, v115, v139 :: v_dual_add_f32 v46, v46, v144
	v_add_f32_e32 v129, v159, v130
	v_mul_f32_e32 v159, 0xbe11bafb, v29
	s_delay_alu instid0(VALU_DEP_1) | instskip(SKIP_1) | instid1(VALU_DEP_1)
	v_fmamk_f32 v162, v125, 0x3f7d64f0, v159
	v_mul_f32_e32 v153, 0xbe903f40, v116
	v_dual_mul_f32 v149, 0xbf75a155, v29 :: v_dual_fmamk_f32 v156, v18, 0xbf75a155, v153
	s_delay_alu instid0(VALU_DEP_1) | instskip(NEXT) | instid1(VALU_DEP_1)
	v_add_f32_e32 v156, v16, v156
	v_add_f32_e32 v130, v160, v156
	v_fmac_f32_e32 v131, 0xbe903f40, v124
	v_fmamk_f32 v156, v21, 0xbf27a4f4, v161
	s_delay_alu instid0(VALU_DEP_1) | instskip(SKIP_3) | instid1(VALU_DEP_3)
	v_dual_add_f32 v131, v17, v131 :: v_dual_add_f32 v130, v156, v130
	v_fmamk_f32 v156, v20, 0x3ed4b147, v158
	v_fmac_f32_e32 v155, 0x3f68dda4, v123
	v_fma_f32 v145, 0xbe11bafb, v18, -v145
	v_dual_add_f32 v131, v134, v131 :: v_dual_add_f32 v134, v156, v130
	s_delay_alu instid0(VALU_DEP_2) | instskip(NEXT) | instid1(VALU_DEP_2)
	v_add_f32_e32 v145, v16, v145
	v_dual_add_f32 v131, v132, v131 :: v_dual_mul_f32 v160, 0xbf7d64f0, v121
	s_delay_alu instid0(VALU_DEP_1) | instskip(NEXT) | instid1(VALU_DEP_2)
	v_add_f32_e32 v131, v155, v131
	v_fmamk_f32 v156, v23, 0xbe11bafb, v160
	v_dual_mul_f32 v155, 0x3f7d64f0, v126 :: v_dual_add_f32 v130, v162, v129
	v_fma_f32 v153, 0xbf75a155, v18, -v153
	v_mul_f32_e32 v126, 0xbf4178ce, v126
	s_delay_alu instid0(VALU_DEP_4)
	v_add_f32_e32 v129, v156, v134
	v_fma_f32 v134, 0x3f575c64, v19, -v157
	v_mul_f32_e32 v156, 0xbf4178ce, v124
	v_add_f32_e32 v132, v16, v153
	v_fmac_f32_e32 v159, 0xbf7d64f0, v125
	v_fma_f32 v157, 0xbf27a4f4, v21, -v161
	v_mul_f32_e32 v161, 0xbe903f40, v123
	s_delay_alu instid0(VALU_DEP_4) | instskip(NEXT) | instid1(VALU_DEP_4)
	v_dual_add_f32 v145, v148, v145 :: v_dual_add_f32 v134, v134, v132
	v_dual_add_f32 v132, v159, v131 :: v_dual_mul_f32 v159, 0xbf0a6770, v122
	v_fma_f32 v148, 0x3ed4b147, v21, -v150
	v_mul_f32_e32 v122, 0x3e903f40, v122
	s_delay_alu instid0(VALU_DEP_4) | instskip(SKIP_4) | instid1(VALU_DEP_4)
	v_add_f32_e32 v134, v157, v134
	v_fma_f32 v157, 0x3ed4b147, v20, -v158
	v_fmamk_f32 v153, v31, 0xbf27a4f4, v156
	v_fma_f32 v160, 0xbe11bafb, v23, -v160
	v_mul_f32_e32 v124, 0xbf68dda4, v124
	v_add_f32_e32 v134, v157, v134
	s_delay_alu instid0(VALU_DEP_4) | instskip(SKIP_1) | instid1(VALU_DEP_1)
	v_add_f32_e32 v131, v17, v153
	v_fmamk_f32 v153, v28, 0xbe11bafb, v155
	v_dual_fmamk_f32 v146, v31, 0x3ed4b147, v124 :: v_dual_add_f32 v131, v153, v131
	v_fmamk_f32 v153, v30, 0x3f575c64, v159
	s_delay_alu instid0(VALU_DEP_1) | instskip(NEXT) | instid1(VALU_DEP_1)
	v_dual_mul_f32 v158, 0xbf4178ce, v116 :: v_dual_add_f32 v131, v153, v131
	v_fma_f32 v157, 0xbf27a4f4, v18, -v158
	v_fmamk_f32 v153, v22, 0xbf75a155, v161
	v_mul_f32_e32 v162, 0x3f7d64f0, v117
	s_delay_alu instid0(VALU_DEP_3) | instskip(NEXT) | instid1(VALU_DEP_3)
	v_dual_fmac_f32 v158, 0xbf27a4f4, v18 :: v_dual_add_f32 v157, v16, v157
	v_add_f32_e32 v153, v153, v131
	s_delay_alu instid0(VALU_DEP_3) | instskip(SKIP_1) | instid1(VALU_DEP_2)
	v_fma_f32 v164, 0xbe11bafb, v19, -v162
	v_dual_add_f32 v131, v160, v134 :: v_dual_fmac_f32 v162, 0xbe11bafb, v19
	v_add_f32_e32 v157, v164, v157
	v_fma_f32 v164, 0x3f575c64, v21, -v165
	v_dual_add_f32 v134, v166, v153 :: v_dual_mul_f32 v153, 0xbe903f40, v120
	s_delay_alu instid0(VALU_DEP_2) | instskip(SKIP_1) | instid1(VALU_DEP_3)
	v_add_f32_e32 v157, v164, v157
	v_mul_f32_e32 v164, 0x3f68dda4, v121
	v_fma_f32 v160, 0xbf75a155, v20, -v153
	v_mul_f32_e32 v121, 0x3f0a6770, v121
	s_delay_alu instid0(VALU_DEP_2) | instskip(NEXT) | instid1(VALU_DEP_4)
	v_add_f32_e32 v138, v160, v157
	v_fma_f32 v157, 0x3ed4b147, v23, -v164
	s_delay_alu instid0(VALU_DEP_1) | instskip(SKIP_3) | instid1(VALU_DEP_3)
	v_dual_add_f32 v133, v157, v138 :: v_dual_add_f32 v138, v148, v145
	v_fma_f32 v145, 0x3f575c64, v20, -v152
	v_fma_f32 v148, 0xbf27a4f4, v23, -v154
	v_mul_f32_e32 v154, 0x3f7d64f0, v120
	v_dual_add_f32 v138, v145, v138 :: v_dual_mul_f32 v145, 0xbf68dda4, v116
	v_add_f32_e32 v116, v17, v146
	v_fmamk_f32 v146, v28, 0xbf27a4f4, v126
	v_fmac_f32_e32 v151, 0xbf4178ce, v125
	s_delay_alu instid0(VALU_DEP_4) | instskip(NEXT) | instid1(VALU_DEP_3)
	v_fma_f32 v150, 0x3ed4b147, v18, -v145
	v_add_f32_e32 v116, v146, v116
	v_mul_f32_e32 v152, 0xbf4178ce, v117
	v_fmamk_f32 v117, v30, 0xbf75a155, v122
	s_delay_alu instid0(VALU_DEP_4) | instskip(SKIP_1) | instid1(VALU_DEP_3)
	v_dual_mul_f32 v123, 0x3f7d64f0, v123 :: v_dual_add_f32 v146, v16, v150
	v_mul_f32_e32 v125, 0x3f0a6770, v125
	v_dual_fmac_f32 v145, 0x3ed4b147, v18 :: v_dual_add_f32 v116, v117, v116
	s_delay_alu instid0(VALU_DEP_2) | instskip(NEXT) | instid1(VALU_DEP_4)
	v_fmamk_f32 v157, v29, 0x3f575c64, v125
	v_fmamk_f32 v117, v22, 0xbe11bafb, v123
	s_delay_alu instid0(VALU_DEP_1)
	v_dual_add_f32 v120, v117, v116 :: v_dual_add_f32 v117, v151, v142
	v_fma_f32 v150, 0xbf27a4f4, v19, -v152
	v_add_f32_e32 v116, v148, v138
	v_fma_f32 v138, 0x3f575c64, v23, -v121
	v_fmac_f32_e32 v152, 0xbf27a4f4, v19
	v_fma_f32 v19, 0xbf75a155, v30, -v122
	v_add_f32_e32 v146, v150, v146
	v_fma_f32 v150, 0xbf75a155, v21, -v118
	v_fmac_f32_e32 v118, 0xbf75a155, v21
	s_delay_alu instid0(VALU_DEP_2) | instskip(SKIP_3) | instid1(VALU_DEP_3)
	v_add_f32_e32 v142, v150, v146
	v_fma_f32 v146, 0xbe11bafb, v20, -v154
	v_add_f32_e32 v120, v157, v120
	v_fmac_f32_e32 v154, 0xbe11bafb, v20
	v_add_f32_e32 v136, v146, v142
	s_delay_alu instid0(VALU_DEP_1) | instskip(NEXT) | instid1(VALU_DEP_1)
	v_dual_add_f32 v142, v17, v119 :: v_dual_add_f32 v119, v138, v136
	v_add_f32_e32 v111, v115, v142
	s_delay_alu instid0(VALU_DEP_1) | instskip(NEXT) | instid1(VALU_DEP_1)
	v_add_f32_e32 v105, v107, v111
	v_dual_add_f32 v47, v16, v47 :: v_dual_add_f32 v46, v46, v105
	s_delay_alu instid0(VALU_DEP_1) | instskip(NEXT) | instid1(VALU_DEP_1)
	v_add_f32_e32 v39, v39, v47
	v_add_f32_e32 v38, v38, v39
	v_sub_f32_e32 v39, v143, v35
	s_delay_alu instid0(VALU_DEP_1) | instskip(SKIP_2) | instid1(VALU_DEP_2)
	v_add_f32_e32 v38, v39, v38
	v_dual_add_f32 v47, v103, v102 :: v_dual_add_f32 v102, v104, v108
	v_add_f32_e32 v103, v114, v149
	v_add_f32_e32 v47, v47, v101
	s_delay_alu instid0(VALU_DEP_3) | instskip(NEXT) | instid1(VALU_DEP_3)
	v_add_f32_e32 v101, v102, v106
	v_add_f32_e32 v35, v103, v46
	s_delay_alu instid0(VALU_DEP_2) | instskip(SKIP_2) | instid1(VALU_DEP_3)
	v_dual_add_f32 v46, v47, v100 :: v_dual_add_f32 v37, v101, v37
	v_fma_f32 v47, 0xbf27a4f4, v31, -v156
	v_fma_f32 v31, 0x3ed4b147, v31, -v124
	v_dual_add_f32 v39, v46, v99 :: v_dual_add_f32 v36, v37, v36
	v_add_f32_e32 v34, v34, v38
	v_fma_f32 v46, 0xbe11bafb, v28, -v155
	v_fma_f32 v28, 0xbf27a4f4, v28, -v126
	s_delay_alu instid0(VALU_DEP_4) | instskip(SKIP_2) | instid1(VALU_DEP_3)
	v_add_f32_e32 v38, v39, v98
	v_add_f32_e32 v36, v36, v33
	v_fma_f32 v39, 0x3f575c64, v30, -v159
	v_dual_add_f32 v33, v38, v97 :: v_dual_add_f32 v38, v16, v158
	s_delay_alu instid0(VALU_DEP_3) | instskip(SKIP_1) | instid1(VALU_DEP_3)
	v_dual_add_f32 v37, v17, v47 :: v_dual_add_f32 v32, v36, v32
	v_dual_add_f32 v17, v17, v31 :: v_dual_add_f32 v16, v16, v145
	v_add_f32_e32 v38, v162, v38
	s_delay_alu instid0(VALU_DEP_3) | instskip(NEXT) | instid1(VALU_DEP_3)
	v_add_f32_e32 v37, v46, v37
	v_dual_fmac_f32 v165, 0x3f575c64, v21 :: v_dual_add_f32 v16, v152, v16
	s_delay_alu instid0(VALU_DEP_4) | instskip(NEXT) | instid1(VALU_DEP_2)
	v_add_f32_e32 v17, v28, v17
	v_dual_add_f32 v36, v39, v37 :: v_dual_add_f32 v31, v165, v38
	v_fma_f32 v37, 0xbf75a155, v22, -v161
	s_delay_alu instid0(VALU_DEP_3)
	v_dual_add_f32 v16, v118, v16 :: v_dual_add_f32 v17, v19, v17
	v_mul_u32_u24_e32 v19, 0xb0, v83
	v_fma_f32 v22, 0xbe11bafb, v22, -v123
	v_fmac_f32_e32 v153, 0xbf75a155, v20
	v_add_f32_e32 v18, v37, v36
	v_fma_f32 v28, 0x3ed4b147, v29, -v163
	v_or_b32_e32 v19, v19, v82
	s_delay_alu instid0(VALU_DEP_4)
	v_dual_add_f32 v20, v22, v17 :: v_dual_add_f32 v21, v153, v31
	v_fmac_f32_e32 v164, 0x3ed4b147, v23
	v_fma_f32 v22, 0x3f575c64, v29, -v125
	v_add_f32_e32 v29, v154, v16
	v_fmac_f32_e32 v121, 0x3f575c64, v23
	v_lshl_add_u32 v23, v19, 3, v81
	v_add_f32_e32 v16, v164, v21
	v_add_f32_e32 v17, v28, v18
	s_delay_alu instid0(VALU_DEP_4)
	v_dual_add_f32 v19, v22, v20 :: v_dual_add_f32 v18, v121, v29
	ds_store_2addr_b64 v23, v[32:33], v[34:35] offset1:16
	ds_store_2addr_b64 v23, v[119:120], v[116:117] offset0:32 offset1:48
	ds_store_2addr_b64 v23, v[133:134], v[131:132] offset0:64 offset1:80
	;; [unrolled: 1-line block ×4, first 2 shown]
	ds_store_b64 v23, v[77:78] offset:1280
.LBB0_5:
	s_or_b32 exec_lo, exec_lo, s0
	v_lshlrev_b32_e32 v16, 5, v79
	s_waitcnt lgkmcnt(0)
	s_barrier
	buffer_gl0_inv
	global_load_b128 v[20:23], v16, s[10:11] offset:1392
	v_lshlrev_b32_e32 v17, 5, v91
	v_add_nc_u32_e32 v36, 0x400, v80
	v_add_nc_u32_e32 v97, 0x1000, v80
	s_clause 0x2
	global_load_b128 v[32:35], v16, s[10:11] offset:1408
	global_load_b128 v[28:31], v17, s[10:11] offset:1392
	;; [unrolled: 1-line block ×3, first 2 shown]
	v_add_nc_u32_e32 v98, 0x800, v80
	ds_load_2addr_b64 v[99:102], v80 offset1:88
	ds_load_2addr_b64 v[103:106], v36 offset0:48 offset1:136
	ds_load_2addr_b64 v[107:110], v98 offset0:96 offset1:184
	;; [unrolled: 1-line block ×3, first 2 shown]
	v_add_nc_u32_e32 v37, 0x1400, v80
	v_lshlrev_b32_e32 v38, 3, v79
	v_lshl_add_u32 v91, v79, 3, v81
	s_waitcnt vmcnt(3) lgkmcnt(2)
	s_delay_alu instid0(VALU_DEP_1)
	v_dual_mul_f32 v123, v104, v21 :: v_dual_add_nc_u32 v122, 0x1000, v91
	s_waitcnt lgkmcnt(1)
	v_dual_mul_f32 v124, v103, v21 :: v_dual_mul_f32 v125, v108, v23
	s_waitcnt vmcnt(2) lgkmcnt(0)
	v_mul_f32_e32 v128, v111, v33
	s_waitcnt vmcnt(1)
	v_mul_f32_e32 v133, v106, v29
	ds_load_2addr_b64 v[115:118], v37 offset0:64 offset1:152
	v_dual_mul_f32 v126, v107, v23 :: v_dual_mul_f32 v127, v112, v33
	v_dual_mul_f32 v134, v105, v29 :: v_dual_add_nc_u32 v121, 0x1200, v80
	v_mul_f32_e32 v135, v110, v31
	s_waitcnt vmcnt(0)
	v_dual_mul_f32 v136, v109, v31 :: v_dual_mul_f32 v137, v114, v17
	v_mul_f32_e32 v138, v113, v17
	v_fma_f32 v103, v103, v20, -v123
	v_fma_f32 v105, v105, v28, -v133
	v_add_co_u32 v129, s0, s8, v38
	s_delay_alu instid0(VALU_DEP_1) | instskip(NEXT) | instid1(VALU_DEP_2)
	v_add_co_ci_u32_e64 v130, null, s9, 0, s0
	v_add_co_u32 v38, s0, 0x1b80, v129
	s_delay_alu instid0(VALU_DEP_1)
	v_add_co_ci_u32_e64 v39, s0, 0, v130, s0
	s_waitcnt lgkmcnt(0)
	v_mul_f32_e32 v139, v118, v19
	v_mul_f32_e32 v131, v116, v35
	v_mul_f32_e32 v132, v115, v35
	v_add_co_u32 v46, s0, 0x1000, v129
	s_delay_alu instid0(VALU_DEP_1) | instskip(NEXT) | instid1(VALU_DEP_4)
	v_add_co_ci_u32_e64 v47, s0, 0, v130, s0
	v_fma_f32 v115, v115, v34, -v131
	v_fmac_f32_e32 v124, v104, v20
	v_fma_f32 v104, v107, v22, -v125
	v_fma_f32 v107, v111, v32, -v127
	v_fmac_f32_e32 v126, v108, v22
	v_dual_fmac_f32 v128, v112, v32 :: v_dual_sub_f32 v131, v103, v115
	v_fmac_f32_e32 v134, v106, v28
	v_fma_f32 v106, v109, v30, -v135
	v_dual_add_f32 v109, v104, v107 :: v_dual_fmac_f32 v136, v110, v30
	v_sub_f32_e32 v133, v104, v107
	v_fma_f32 v111, v113, v16, -v137
	v_add_f32_e32 v113, v103, v115
	v_dual_mul_f32 v140, v117, v19 :: v_dual_add_f32 v125, v100, v124
	v_fma_f32 v117, v117, v18, -v139
	v_dual_sub_f32 v123, v107, v115 :: v_dual_fmac_f32 v132, v116, v34
	v_add_f32_e32 v127, v126, v128
	v_dual_fmac_f32 v138, v114, v16 :: v_dual_sub_f32 v135, v124, v126
	s_delay_alu instid0(VALU_DEP_3) | instskip(SKIP_2) | instid1(VALU_DEP_4)
	v_dual_add_f32 v108, v99, v103 :: v_dual_add_f32 v139, v124, v132
	v_dual_fmac_f32 v140, v118, v18 :: v_dual_sub_f32 v137, v132, v128
	v_dual_sub_f32 v116, v124, v132 :: v_dual_add_f32 v143, v106, v111
	v_dual_sub_f32 v118, v126, v128 :: v_dual_sub_f32 v145, v136, v138
	v_dual_sub_f32 v110, v103, v104 :: v_dual_sub_f32 v147, v117, v111
	;; [unrolled: 1-line block ×3, first 2 shown]
	v_dual_add_f32 v142, v101, v105 :: v_dual_add_f32 v151, v102, v134
	v_dual_add_f32 v148, v105, v117 :: v_dual_add_f32 v157, v134, v140
	v_fma_f32 v103, -0.5, v109, v99
	v_fma_f32 v99, -0.5, v113, v99
	v_add_f32_e32 v108, v108, v104
	v_dual_sub_f32 v112, v115, v107 :: v_dual_sub_f32 v141, v128, v132
	v_dual_sub_f32 v124, v126, v124 :: v_dual_sub_f32 v153, v105, v117
	v_sub_f32_e32 v144, v134, v140
	v_dual_sub_f32 v146, v105, v106 :: v_dual_sub_f32 v155, v134, v136
	v_dual_add_f32 v152, v136, v138 :: v_dual_add_f32 v123, v114, v123
	v_sub_f32_e32 v156, v140, v138
	v_sub_f32_e32 v134, v136, v134
	v_sub_f32_e32 v158, v138, v140
	v_fma_f32 v105, -0.5, v143, v101
	v_fma_f32 v101, -0.5, v148, v101
	v_dual_add_f32 v114, v151, v136 :: v_dual_fmamk_f32 v109, v118, 0xbf737871, v99
	v_add_f32_e32 v136, v108, v107
	v_dual_fmamk_f32 v107, v116, 0x3f737871, v103 :: v_dual_sub_f32 v150, v111, v117
	v_add_f32_e32 v159, v110, v112
	v_fma_f32 v104, -0.5, v127, v100
	v_fma_f32 v100, -0.5, v139, v100
	v_add_f32_e32 v112, v142, v106
	v_add_f32_e32 v110, v125, v126
	v_dual_sub_f32 v154, v106, v111 :: v_dual_add_f32 v127, v149, v150
	v_fma_f32 v106, -0.5, v152, v102
	v_dual_fmac_f32 v107, 0x3f167918, v118 :: v_dual_fmac_f32 v102, -0.5, v157
	v_add_f32_e32 v115, v136, v115
	v_add_f32_e32 v125, v135, v137
	v_dual_add_f32 v124, v124, v141 :: v_dual_fmac_f32 v99, 0x3f737871, v118
	v_fmac_f32_e32 v103, 0xbf737871, v116
	v_dual_add_f32 v137, v112, v111 :: v_dual_add_f32 v128, v110, v128
	v_fmamk_f32 v108, v131, 0xbf737871, v104
	v_fmamk_f32 v110, v133, 0x3f737871, v100
	v_fmac_f32_e32 v104, 0x3f737871, v131
	v_fmac_f32_e32 v100, 0xbf737871, v133
	v_dual_add_f32 v126, v146, v147 :: v_dual_add_f32 v135, v155, v156
	v_dual_add_f32 v134, v134, v158 :: v_dual_fmamk_f32 v111, v144, 0x3f737871, v105
	v_fmac_f32_e32 v105, 0xbf737871, v144
	v_fmamk_f32 v113, v145, 0xbf737871, v101
	v_dual_fmac_f32 v101, 0x3f737871, v145 :: v_dual_add_f32 v138, v114, v138
	v_fmac_f32_e32 v109, 0x3f167918, v116
	v_fmamk_f32 v112, v153, 0xbf737871, v106
	v_fmamk_f32 v114, v154, 0x3f737871, v102
	v_fmac_f32_e32 v106, 0x3f737871, v153
	v_fmac_f32_e32 v102, 0xbf737871, v154
	v_dual_fmac_f32 v103, 0xbf167918, v118 :: v_dual_fmac_f32 v110, 0xbf167918, v131
	v_fmac_f32_e32 v105, 0xbf167918, v145
	v_add_f32_e32 v117, v137, v117
	v_dual_fmac_f32 v99, 0xbf167918, v116 :: v_dual_fmac_f32 v108, 0xbf167918, v133
	v_dual_fmac_f32 v104, 0x3f167918, v133 :: v_dual_fmac_f32 v113, 0x3f167918, v144
	v_fmac_f32_e32 v100, 0x3f167918, v131
	v_dual_add_f32 v116, v128, v132 :: v_dual_fmac_f32 v111, 0x3f167918, v145
	v_dual_fmac_f32 v101, 0xbf167918, v144 :: v_dual_fmac_f32 v112, 0xbf167918, v154
	v_fmac_f32_e32 v114, 0xbf167918, v153
	v_fmac_f32_e32 v106, 0x3f167918, v154
	;; [unrolled: 1-line block ×3, first 2 shown]
	v_dual_add_f32 v118, v138, v140 :: v_dual_fmac_f32 v107, 0x3e9e377a, v159
	v_dual_fmac_f32 v103, 0x3e9e377a, v159 :: v_dual_fmac_f32 v108, 0x3e9e377a, v125
	v_dual_fmac_f32 v109, 0x3e9e377a, v123 :: v_dual_fmac_f32 v104, 0x3e9e377a, v125
	;; [unrolled: 1-line block ×4, first 2 shown]
	v_add_co_u32 v119, s0, 0x2000, v129
	v_dual_fmac_f32 v105, 0x3e9e377a, v126 :: v_dual_fmac_f32 v112, 0x3e9e377a, v135
	v_dual_fmac_f32 v113, 0x3e9e377a, v127 :: v_dual_fmac_f32 v114, 0x3e9e377a, v134
	v_add_co_ci_u32_e64 v120, s0, 0, v130, s0
	v_dual_fmac_f32 v101, 0x3e9e377a, v127 :: v_dual_fmac_f32 v102, 0x3e9e377a, v134
	v_fmac_f32_e32 v106, 0x3e9e377a, v135
	ds_store_2addr_b64 v36, v[107:108], v[109:110] offset0:48 offset1:224
	ds_store_2addr_b64 v122, v[99:100], v[103:104] offset0:16 offset1:192
	ds_store_2addr_b64 v80, v[115:116], v[117:118] offset1:88
	ds_store_2addr_b64 v98, v[111:112], v[113:114] offset0:8 offset1:184
	ds_store_2addr_b64 v121, v[101:102], v[105:106] offset0:40 offset1:216
	v_add_co_u32 v99, s0, 0x3000, v129
	s_delay_alu instid0(VALU_DEP_1)
	v_add_co_ci_u32_e64 v100, s0, 0, v130, s0
	s_waitcnt lgkmcnt(0)
	s_barrier
	buffer_gl0_inv
	s_clause 0x9
	global_load_b64 v[46:47], v[46:47], off offset:2944
	global_load_b64 v[121:122], v[119:120], off offset:3072
	;; [unrolled: 1-line block ×10, first 2 shown]
	ds_load_2addr_b64 v[99:102], v80 offset1:88
	ds_load_2addr_b64 v[103:106], v98 offset0:96 offset1:184
	ds_load_2addr_b64 v[107:110], v97 offset0:16 offset1:104
	;; [unrolled: 1-line block ×4, first 2 shown]
	s_waitcnt vmcnt(9) lgkmcnt(4)
	v_mul_f32_e32 v136, v100, v47
	v_mul_f32_e32 v135, v99, v47
	s_waitcnt vmcnt(8) lgkmcnt(2)
	v_mul_f32_e32 v139, v108, v122
	s_waitcnt vmcnt(6)
	v_mul_f32_e32 v137, v106, v124
	s_waitcnt vmcnt(5)
	v_dual_mul_f32 v47, v105, v124 :: v_dual_mul_f32 v138, v102, v126
	v_mul_f32_e32 v124, v101, v126
	v_mul_f32_e32 v126, v107, v122
	s_waitcnt vmcnt(4) lgkmcnt(1)
	v_mul_f32_e32 v140, v112, v128
	v_mul_f32_e32 v122, v111, v128
	;; [unrolled: 1-line block ×4, first 2 shown]
	s_waitcnt vmcnt(3)
	v_mul_f32_e32 v142, v114, v130
	s_waitcnt vmcnt(2) lgkmcnt(0)
	v_dual_mul_f32 v120, v113, v130 :: v_dual_mul_f32 v143, v116, v132
	v_mul_f32_e32 v130, v115, v132
	s_waitcnt vmcnt(1)
	v_mul_f32_e32 v144, v104, v39
	s_waitcnt vmcnt(0)
	v_dual_mul_f32 v132, v103, v39 :: v_dual_mul_f32 v145, v118, v134
	v_mul_f32_e32 v39, v117, v134
	v_fma_f32 v134, v99, v46, -v136
	v_fmac_f32_e32 v135, v100, v46
	v_fma_f32 v46, v105, v123, -v137
	v_fmac_f32_e32 v47, v106, v123
	;; [unrolled: 2-line block ×10, first 2 shown]
	ds_store_2addr_b64 v80, v[134:135], v[123:124] offset1:88
	ds_store_2addr_b64 v97, v[125:126], v[127:128] offset0:16 offset1:104
	ds_store_2addr_b64 v36, v[121:122], v[119:120] offset0:48 offset1:136
	;; [unrolled: 1-line block ×4, first 2 shown]
	s_waitcnt lgkmcnt(0)
	s_barrier
	buffer_gl0_inv
	ds_load_2addr_b64 v[99:102], v80 offset1:88
	ds_load_2addr_b64 v[103:106], v98 offset0:96 offset1:184
	ds_load_2addr_b64 v[107:110], v97 offset0:16 offset1:104
	;; [unrolled: 1-line block ×4, first 2 shown]
	s_waitcnt lgkmcnt(0)
	s_barrier
	buffer_gl0_inv
	v_dual_sub_f32 v119, v99, v105 :: v_dual_sub_f32 v120, v100, v106
	v_dual_sub_f32 v107, v101, v107 :: v_dual_sub_f32 v108, v102, v108
	;; [unrolled: 1-line block ×5, first 2 shown]
	v_fma_f32 v117, v99, 2.0, -v119
	v_fma_f32 v118, v100, 2.0, -v120
	;; [unrolled: 1-line block ×10, first 2 shown]
	ds_store_b128 v48, v[117:120]
	ds_store_b128 v52, v[105:108]
	;; [unrolled: 1-line block ×5, first 2 shown]
	s_waitcnt lgkmcnt(0)
	s_barrier
	buffer_gl0_inv
	ds_load_2addr_b64 v[46:49], v98 offset0:96 offset1:184
	ds_load_2addr_b64 v[99:102], v97 offset0:16 offset1:104
	;; [unrolled: 1-line block ×3, first 2 shown]
	ds_load_2addr_b64 v[107:110], v80 offset1:88
	ds_load_2addr_b64 v[111:114], v36 offset0:48 offset1:136
	s_waitcnt lgkmcnt(0)
	s_barrier
	buffer_gl0_inv
	v_mul_f32_e32 v38, v41, v49
	v_mul_f32_e32 v39, v41, v48
	;; [unrolled: 1-line block ×9, first 2 shown]
	v_dual_mul_f32 v41, v41, v105 :: v_dual_fmac_f32 v38, v40, v48
	v_fma_f32 v39, v40, v49, -v39
	v_fmac_f32_e32 v50, v40, v99
	v_fma_f32 v48, v40, v100, -v51
	v_fmac_f32_e32 v52, v40, v101
	;; [unrolled: 2-line block ×4, first 2 shown]
	v_fma_f32 v100, v40, v106, -v41
	v_dual_sub_f32 v38, v107, v38 :: v_dual_sub_f32 v39, v108, v39
	v_dual_sub_f32 v40, v109, v50 :: v_dual_sub_f32 v41, v110, v48
	;; [unrolled: 1-line block ×5, first 2 shown]
	v_fma_f32 v101, v107, 2.0, -v38
	v_fma_f32 v102, v108, 2.0, -v39
	v_fma_f32 v103, v109, 2.0, -v40
	v_fma_f32 v104, v110, 2.0, -v41
	v_fma_f32 v105, v111, 2.0, -v48
	v_fma_f32 v106, v112, 2.0, -v49
	v_fma_f32 v107, v113, 2.0, -v50
	v_fma_f32 v108, v114, 2.0, -v51
	v_fma_f32 v46, v46, 2.0, -v99
	v_fma_f32 v47, v47, 2.0, -v100
	ds_store_2addr_b64 v85, v[101:102], v[38:39] offset1:2
	ds_store_2addr_b64 v84, v[103:104], v[40:41] offset1:2
	;; [unrolled: 1-line block ×5, first 2 shown]
	s_waitcnt lgkmcnt(0)
	s_barrier
	buffer_gl0_inv
	ds_load_2addr_b64 v[38:41], v98 offset0:96 offset1:184
	ds_load_2addr_b64 v[46:49], v97 offset0:16 offset1:104
	;; [unrolled: 1-line block ×3, first 2 shown]
	ds_load_2addr_b64 v[99:102], v80 offset1:88
	ds_load_2addr_b64 v[103:106], v36 offset0:48 offset1:136
	s_waitcnt lgkmcnt(0)
	s_barrier
	buffer_gl0_inv
	v_mul_f32_e32 v54, v43, v41
	v_mul_f32_e32 v55, v43, v40
	;; [unrolled: 1-line block ×10, first 2 shown]
	v_fmac_f32_e32 v54, v42, v40
	v_fma_f32 v41, v42, v41, -v55
	v_fmac_f32_e32 v84, v42, v46
	v_fma_f32 v46, v42, v47, -v85
	v_fmac_f32_e32 v107, v42, v48
	v_fma_f32 v47, v42, v49, -v108
	v_fmac_f32_e32 v109, v42, v50
	v_fma_f32 v49, v42, v51, -v110
	v_fmac_f32_e32 v111, v42, v52
	v_fma_f32 v51, v42, v53, -v43
	v_dual_sub_f32 v40, v99, v54 :: v_dual_sub_f32 v41, v100, v41
	v_dual_sub_f32 v42, v101, v84 :: v_dual_sub_f32 v43, v102, v46
	v_sub_f32_e32 v46, v103, v107
	v_dual_sub_f32 v47, v104, v47 :: v_dual_sub_f32 v48, v105, v109
	v_sub_f32_e32 v49, v106, v49
	v_sub_f32_e32 v50, v38, v111
	;; [unrolled: 1-line block ×3, first 2 shown]
	v_fma_f32 v52, v99, 2.0, -v40
	v_fma_f32 v53, v100, 2.0, -v41
	;; [unrolled: 1-line block ×10, first 2 shown]
	ds_store_2addr_b64 v90, v[52:53], v[40:41] offset1:4
	ds_store_2addr_b64 v89, v[54:55], v[42:43] offset1:4
	ds_store_2addr_b64 v88, v[84:85], v[46:47] offset1:4
	ds_store_2addr_b64 v87, v[99:100], v[48:49] offset1:4
	ds_store_2addr_b64 v86, v[38:39], v[50:51] offset1:4
	s_waitcnt lgkmcnt(0)
	s_barrier
	buffer_gl0_inv
	ds_load_2addr_b64 v[52:55], v98 offset0:96 offset1:184
	ds_load_2addr_b64 v[38:41], v97 offset0:16 offset1:104
	ds_load_2addr_b64 v[46:49], v37 offset0:64 offset1:152
	ds_load_2addr_b64 v[84:87], v80 offset1:88
	ds_load_2addr_b64 v[99:102], v36 offset0:48 offset1:136
	s_waitcnt lgkmcnt(0)
	s_barrier
	buffer_gl0_inv
	v_mul_f32_e32 v36, v45, v55
	v_mul_f32_e32 v37, v45, v54
	;; [unrolled: 1-line block ×9, first 2 shown]
	v_dual_mul_f32 v45, v45, v48 :: v_dual_fmac_f32 v36, v44, v54
	v_fma_f32 v37, v44, v55, -v37
	v_fmac_f32_e32 v42, v44, v38
	v_fma_f32 v43, v44, v39, -v43
	v_fmac_f32_e32 v88, v44, v40
	;; [unrolled: 2-line block ×4, first 2 shown]
	v_fma_f32 v44, v44, v49, -v45
	v_dual_sub_f32 v38, v84, v36 :: v_dual_sub_f32 v39, v85, v37
	v_dual_sub_f32 v50, v86, v42 :: v_dual_sub_f32 v51, v87, v43
	s_delay_alu instid0(VALU_DEP_3)
	v_sub_f32_e32 v55, v53, v44
	v_sub_f32_e32 v42, v99, v88
	v_dual_sub_f32 v43, v100, v40 :: v_dual_sub_f32 v46, v101, v89
	v_dual_sub_f32 v47, v102, v41 :: v_dual_sub_f32 v54, v52, v90
	v_fma_f32 v36, v84, 2.0, -v38
	v_fma_f32 v37, v85, 2.0, -v39
	;; [unrolled: 1-line block ×10, first 2 shown]
	ds_store_2addr_b64 v96, v[36:37], v[38:39] offset1:8
	ds_store_2addr_b64 v95, v[48:49], v[50:51] offset1:8
	ds_store_2addr_b64 v94, v[40:41], v[42:43] offset1:8
	ds_store_2addr_b64 v93, v[44:45], v[46:47] offset1:8
	ds_store_2addr_b64 v92, v[52:53], v[54:55] offset1:8
	s_waitcnt lgkmcnt(0)
	s_barrier
	buffer_gl0_inv
	s_and_saveexec_b32 s0, vcc_lo
	s_cbranch_execz .LBB0_7
; %bb.6:
	v_add_nc_u32_e32 v44, 0xc00, v80
	ds_load_2addr_b64 v[36:39], v80 offset1:80
	ds_load_2addr_b64 v[48:51], v80 offset0:160 offset1:240
	ds_load_2addr_b64 v[40:43], v98 offset0:64 offset1:144
	;; [unrolled: 1-line block ×4, first 2 shown]
	ds_load_b64 v[77:78], v80 offset:6400
.LBB0_7:
	s_or_b32 exec_lo, exec_lo, s0
	v_add_nc_u32_e32 v84, 0x2c0, v80
	s_waitcnt lgkmcnt(0)
	s_barrier
	buffer_gl0_inv
	s_and_saveexec_b32 s0, vcc_lo
	s_cbranch_execz .LBB0_9
; %bb.8:
	v_dual_mul_f32 v85, v13, v39 :: v_dual_mul_f32 v86, v27, v78
	v_mul_f32_e32 v13, v13, v38
	s_delay_alu instid0(VALU_DEP_2) | instskip(SKIP_1) | instid1(VALU_DEP_4)
	v_dual_fmac_f32 v85, v12, v38 :: v_dual_mul_f32 v38, v15, v49
	v_mul_f32_e32 v27, v27, v77
	v_dual_fmac_f32 v86, v26, v77 :: v_dual_mul_f32 v77, v25, v55
	s_delay_alu instid0(VALU_DEP_3) | instskip(NEXT) | instid1(VALU_DEP_3)
	v_fmac_f32_e32 v38, v14, v48
	v_fma_f32 v26, v26, v78, -v27
	v_fma_f32 v27, v12, v39, -v13
	s_delay_alu instid0(VALU_DEP_4) | instskip(SKIP_3) | instid1(VALU_DEP_4)
	v_fmac_f32_e32 v77, v24, v54
	v_mul_f32_e32 v25, v25, v54
	v_mul_f32_e32 v54, v5, v51
	v_sub_f32_e32 v13, v85, v86
	v_dual_mul_f32 v5, v5, v50 :: v_dual_sub_f32 v12, v38, v77
	s_delay_alu instid0(VALU_DEP_4) | instskip(SKIP_2) | instid1(VALU_DEP_4)
	v_fma_f32 v24, v24, v55, -v25
	v_mul_f32_e32 v55, v11, v53
	v_dual_mul_f32 v11, v11, v52 :: v_dual_fmac_f32 v54, v4, v50
	v_mul_f32_e32 v25, 0x3e903f40, v12
	v_dual_mul_f32 v15, v15, v48 :: v_dual_add_f32 v48, v26, v27
	v_mul_f32_e32 v39, 0xbf7d64f0, v13
	v_mul_f32_e32 v50, v7, v41
	v_fma_f32 v53, v10, v53, -v11
	s_delay_alu instid0(VALU_DEP_4) | instskip(SKIP_3) | instid1(VALU_DEP_4)
	v_fma_f32 v14, v14, v49, -v15
	v_fma_f32 v51, v4, v51, -v5
	v_dual_mul_f32 v4, v9, v46 :: v_dual_fmac_f32 v55, v10, v52
	v_dual_mul_f32 v52, v9, v47 :: v_dual_fmamk_f32 v15, v48, 0xbe11bafb, v39
	v_dual_add_f32 v49, v24, v14 :: v_dual_fmac_f32 v50, v6, v40
	s_delay_alu instid0(VALU_DEP_2) | instskip(NEXT) | instid1(VALU_DEP_3)
	v_dual_mul_f32 v5, v7, v40 :: v_dual_fmac_f32 v52, v8, v46
	v_add_f32_e32 v15, v37, v15
	s_delay_alu instid0(VALU_DEP_3)
	v_fmamk_f32 v78, v49, 0xbf75a155, v25
	v_add_f32_e32 v10, v53, v51
	v_fma_f32 v46, v8, v47, -v4
	v_sub_f32_e32 v40, v50, v52
	v_fma_f32 v39, 0xbe11bafb, v48, -v39
	v_add_f32_e32 v4, v78, v15
	v_dual_sub_f32 v87, v54, v55 :: v_dual_mul_f32 v78, v3, v45
	v_mul_f32_e32 v47, v1, v43
	v_mul_f32_e32 v1, v1, v42
	s_delay_alu instid0(VALU_DEP_3) | instskip(NEXT) | instid1(VALU_DEP_3)
	v_dual_sub_f32 v88, v27, v26 :: v_dual_mul_f32 v9, 0x3f68dda4, v87
	v_dual_fmac_f32 v78, v2, v44 :: v_dual_fmac_f32 v47, v0, v42
	v_add_f32_e32 v42, v86, v85
	s_delay_alu instid0(VALU_DEP_3)
	v_mul_f32_e32 v8, 0xbf7d64f0, v88
	v_fma_f32 v41, v6, v41, -v5
	v_fmamk_f32 v5, v10, 0x3ed4b147, v9
	v_fma_f32 v43, v0, v43, -v1
	v_mul_f32_e32 v3, v3, v44
	v_mul_f32_e32 v6, 0xbf0a6770, v40
	v_dual_sub_f32 v44, v47, v78 :: v_dual_sub_f32 v89, v14, v24
	v_dual_add_f32 v4, v5, v4 :: v_dual_add_f32 v15, v46, v41
	s_delay_alu instid0(VALU_DEP_4) | instskip(SKIP_1) | instid1(VALU_DEP_4)
	v_fma_f32 v45, v2, v45, -v3
	v_fma_f32 v0, 0xbe11bafb, v42, -v8
	v_dual_add_f32 v90, v77, v38 :: v_dual_mul_f32 v11, 0x3e903f40, v89
	s_delay_alu instid0(VALU_DEP_4) | instskip(SKIP_3) | instid1(VALU_DEP_4)
	v_fmamk_f32 v5, v15, 0x3f575c64, v6
	v_mul_f32_e32 v92, 0xbf4178ce, v44
	v_dual_add_f32 v94, v45, v43 :: v_dual_sub_f32 v93, v51, v53
	v_add_f32_e32 v0, v36, v0
	v_add_f32_e32 v4, v5, v4
	v_fma_f32 v1, 0xbf75a155, v90, -v11
	s_delay_alu instid0(VALU_DEP_4) | instskip(SKIP_1) | instid1(VALU_DEP_3)
	v_dual_fmamk_f32 v2, v94, 0xbf27a4f4, v92 :: v_dual_add_f32 v95, v55, v54
	v_dual_mul_f32 v96, 0x3f68dda4, v93 :: v_dual_sub_f32 v97, v41, v46
	v_add_f32_e32 v0, v1, v0
	s_delay_alu instid0(VALU_DEP_3) | instskip(NEXT) | instid1(VALU_DEP_3)
	v_dual_add_f32 v1, v2, v4 :: v_dual_add_f32 v98, v52, v50
	v_fma_f32 v3, 0x3ed4b147, v95, -v96
	v_mul_f32_e32 v2, 0xbe903f40, v13
	v_mul_f32_e32 v99, 0xbf0a6770, v97
	v_dual_sub_f32 v100, v43, v45 :: v_dual_add_f32 v101, v78, v47
	s_delay_alu instid0(VALU_DEP_3)
	v_dual_add_f32 v0, v3, v0 :: v_dual_fmamk_f32 v3, v48, 0xbf75a155, v2
	v_mul_f32_e32 v4, 0x3f0a6770, v12
	v_fma_f32 v2, 0xbf75a155, v48, -v2
	v_fma_f32 v5, 0x3f575c64, v98, -v99
	v_dual_mul_f32 v102, 0xbf4178ce, v100 :: v_dual_mul_f32 v103, 0xbf4178ce, v87
	v_add_f32_e32 v3, v37, v3
	s_delay_alu instid0(VALU_DEP_4)
	v_dual_mul_f32 v107, 0xbf7d64f0, v44 :: v_dual_add_f32 v2, v37, v2
	v_fmamk_f32 v7, v49, 0x3f575c64, v4
	v_fma_f32 v4, 0x3f575c64, v49, -v4
	v_dual_mul_f32 v105, 0x3f68dda4, v40 :: v_dual_mul_f32 v110, 0x3f68dda4, v97
	v_add_f32_e32 v39, v37, v39
	v_fma_f32 v25, 0xbf75a155, v49, -v25
	s_delay_alu instid0(VALU_DEP_4)
	v_add_f32_e32 v2, v4, v2
	v_dual_add_f32 v0, v5, v0 :: v_dual_add_f32 v3, v7, v3
	v_fma_f32 v5, 0xbf27a4f4, v101, -v102
	v_fmamk_f32 v7, v10, 0xbf27a4f4, v103
	v_fma_f32 v4, 0xbf27a4f4, v10, -v103
	v_fma_f32 v9, 0x3ed4b147, v10, -v9
	s_delay_alu instid0(VALU_DEP_4) | instskip(NEXT) | instid1(VALU_DEP_4)
	v_dual_fmac_f32 v99, 0x3f575c64, v98 :: v_dual_add_f32 v0, v5, v0
	v_dual_mul_f32 v104, 0xbe903f40, v88 :: v_dual_add_f32 v3, v7, v3
	s_delay_alu instid0(VALU_DEP_4) | instskip(SKIP_1) | instid1(VALU_DEP_3)
	v_dual_fmamk_f32 v7, v15, 0x3ed4b147, v105 :: v_dual_add_f32 v4, v4, v2
	v_mul_f32_e32 v106, 0x3f0a6770, v89
	v_fma_f32 v5, 0xbf75a155, v42, -v104
	s_delay_alu instid0(VALU_DEP_3) | instskip(SKIP_1) | instid1(VALU_DEP_4)
	v_dual_fmac_f32 v104, 0xbf75a155, v42 :: v_dual_add_f32 v3, v7, v3
	v_fmamk_f32 v7, v94, 0xbe11bafb, v107
	v_fma_f32 v108, 0x3f575c64, v90, -v106
	s_delay_alu instid0(VALU_DEP_4) | instskip(NEXT) | instid1(VALU_DEP_4)
	v_add_f32_e32 v5, v36, v5
	v_add_f32_e32 v103, v36, v104
	v_fma_f32 v104, 0x3ed4b147, v15, -v105
	v_mul_f32_e32 v109, 0xbf4178ce, v93
	s_delay_alu instid0(VALU_DEP_4) | instskip(NEXT) | instid1(VALU_DEP_3)
	v_dual_fmac_f32 v106, 0x3f575c64, v90 :: v_dual_add_f32 v5, v108, v5
	v_dual_mul_f32 v115, 0xbf4178ce, v89 :: v_dual_add_f32 v4, v104, v4
	s_delay_alu instid0(VALU_DEP_3) | instskip(SKIP_2) | instid1(VALU_DEP_3)
	v_fma_f32 v108, 0xbf27a4f4, v95, -v109
	v_dual_mul_f32 v104, 0xbe11bafb, v49 :: v_dual_add_f32 v3, v7, v3
	v_fma_f32 v7, 0x3ed4b147, v98, -v110
	v_dual_fmac_f32 v110, 0x3ed4b147, v98 :: v_dual_add_f32 v5, v108, v5
	v_mul_f32_e32 v108, 0xbf7d64f0, v100
	v_dual_fmac_f32 v109, 0xbf27a4f4, v95 :: v_dual_fmac_f32 v102, 0xbf27a4f4, v101
	v_mul_f32_e32 v117, 0x3e903f40, v93
	s_delay_alu instid0(VALU_DEP_4) | instskip(NEXT) | instid1(VALU_DEP_4)
	v_add_f32_e32 v5, v7, v5
	v_fma_f32 v7, 0xbe11bafb, v101, -v108
	v_dual_fmac_f32 v108, 0xbe11bafb, v101 :: v_dual_mul_f32 v121, 0xbe11bafb, v10
	v_fmac_f32_e32 v11, 0xbf75a155, v90
	v_fmac_f32_e32 v96, 0x3ed4b147, v95
	s_delay_alu instid0(VALU_DEP_4) | instskip(SKIP_4) | instid1(VALU_DEP_3)
	v_dual_add_f32 v2, v7, v5 :: v_dual_add_f32 v5, v106, v103
	v_mul_f32_e32 v105, 0xbf27a4f4, v48
	v_fma_f32 v7, 0xbe11bafb, v94, -v107
	v_mul_f32_e32 v107, 0xbf4178ce, v88
	v_fmamk_f32 v116, v90, 0xbf27a4f4, v115
	v_dual_add_f32 v106, v109, v5 :: v_dual_add_f32 v5, v7, v4
	v_fmamk_f32 v7, v12, 0xbf7d64f0, v104
	v_fmac_f32_e32 v104, 0x3f7d64f0, v12
	s_delay_alu instid0(VALU_DEP_3) | instskip(SKIP_1) | instid1(VALU_DEP_2)
	v_dual_add_f32 v106, v110, v106 :: v_dual_fmamk_f32 v103, v13, 0x3f4178ce, v105
	v_mul_f32_e32 v110, 0xbf75a155, v15
	v_dual_fmac_f32 v105, 0xbf4178ce, v13 :: v_dual_add_f32 v4, v37, v103
	s_delay_alu instid0(VALU_DEP_1) | instskip(SKIP_2) | instid1(VALU_DEP_2)
	v_dual_add_f32 v7, v7, v4 :: v_dual_add_f32 v4, v108, v106
	v_fmamk_f32 v106, v42, 0xbf27a4f4, v107
	v_mul_f32_e32 v108, 0x3f7d64f0, v89
	v_dual_mul_f32 v89, 0xbf68dda4, v89 :: v_dual_add_f32 v106, v36, v106
	s_delay_alu instid0(VALU_DEP_2) | instskip(NEXT) | instid1(VALU_DEP_1)
	v_fmamk_f32 v112, v90, 0xbe11bafb, v108
	v_dual_mul_f32 v113, 0xbf0a6770, v93 :: v_dual_add_f32 v106, v112, v106
	s_delay_alu instid0(VALU_DEP_1) | instskip(NEXT) | instid1(VALU_DEP_1)
	v_dual_mul_f32 v103, 0x3f575c64, v10 :: v_dual_fmamk_f32 v112, v95, 0x3f575c64, v113
	v_dual_fmamk_f32 v109, v87, 0x3f0a6770, v103 :: v_dual_add_f32 v106, v112, v106
	v_mul_f32_e32 v112, 0x3f68dda4, v100
	v_dual_fmac_f32 v8, 0xbe11bafb, v42 :: v_dual_add_f32 v25, v25, v39
	s_delay_alu instid0(VALU_DEP_3) | instskip(SKIP_1) | instid1(VALU_DEP_3)
	v_add_f32_e32 v7, v109, v7
	v_mul_f32_e32 v111, 0x3ed4b147, v94
	v_dual_fmac_f32 v103, 0xbf0a6770, v87 :: v_dual_add_f32 v8, v36, v8
	v_fmamk_f32 v109, v40, 0x3e903f40, v110
	v_add_f32_e32 v9, v9, v25
	v_fma_f32 v25, 0x3f575c64, v15, -v6
	v_fmac_f32_e32 v110, 0xbe903f40, v40
	s_delay_alu instid0(VALU_DEP_4) | instskip(SKIP_2) | instid1(VALU_DEP_3)
	v_dual_add_f32 v8, v11, v8 :: v_dual_add_f32 v7, v109, v7
	v_fmamk_f32 v109, v44, 0xbf68dda4, v111
	v_mul_f32_e32 v114, 0xbe903f40, v97
	v_add_f32_e32 v8, v96, v8
	s_delay_alu instid0(VALU_DEP_3) | instskip(NEXT) | instid1(VALU_DEP_3)
	v_dual_mul_f32 v96, 0xbf75a155, v10 :: v_dual_add_f32 v7, v109, v7
	v_fmamk_f32 v109, v98, 0xbf75a155, v114
	s_delay_alu instid0(VALU_DEP_1)
	v_add_f32_e32 v39, v109, v106
	v_mul_f32_e32 v109, 0x3ed4b147, v48
	v_mul_f32_e32 v48, 0x3f575c64, v48
	v_fmamk_f32 v106, v101, 0x3ed4b147, v112
	v_add_f32_e32 v8, v99, v8
	v_fmac_f32_e32 v111, 0x3f68dda4, v44
	s_delay_alu instid0(VALU_DEP_4) | instskip(NEXT) | instid1(VALU_DEP_4)
	v_fmamk_f32 v118, v13, 0x3f0a6770, v48
	v_dual_add_f32 v6, v106, v39 :: v_dual_mul_f32 v39, 0xbf27a4f4, v49
	v_add_f32_e32 v9, v25, v9
	v_fma_f32 v25, 0xbf27a4f4, v94, -v92
	s_delay_alu instid0(VALU_DEP_4) | instskip(SKIP_4) | instid1(VALU_DEP_4)
	v_add_f32_e32 v118, v37, v118
	v_dual_fmamk_f32 v11, v13, 0x3f68dda4, v109 :: v_dual_add_f32 v8, v102, v8
	v_fmamk_f32 v92, v12, 0x3f4178ce, v39
	v_mul_f32_e32 v106, 0xbf68dda4, v88
	v_mul_f32_e32 v49, 0x3ed4b147, v49
	v_add_f32_e32 v11, v37, v11
	v_add_f32_e32 v9, v25, v9
	v_mul_f32_e32 v102, 0x3f7d64f0, v97
	v_fmamk_f32 v99, v42, 0x3ed4b147, v106
	v_fmamk_f32 v120, v12, 0x3f68dda4, v49
	v_add_f32_e32 v11, v92, v11
	v_fmamk_f32 v25, v87, 0xbe903f40, v96
	v_mul_f32_e32 v92, 0xbe11bafb, v15
	v_add_f32_e32 v99, v36, v99
	v_add_f32_e32 v118, v120, v118
	s_delay_alu instid0(VALU_DEP_4) | instskip(NEXT) | instid1(VALU_DEP_4)
	v_dual_fmamk_f32 v120, v87, 0x3f7d64f0, v121 :: v_dual_add_f32 v11, v25, v11
	v_fmamk_f32 v25, v40, 0xbf7d64f0, v92
	v_mul_f32_e32 v88, 0xbf0a6770, v88
	v_fmac_f32_e32 v92, 0x3f7d64f0, v40
	v_fmac_f32_e32 v109, 0xbf68dda4, v13
	;; [unrolled: 1-line block ×3, first 2 shown]
	v_add_f32_e32 v11, v25, v11
	v_add_f32_e32 v25, v116, v99
	v_fmamk_f32 v99, v95, 0xbf75a155, v117
	v_mul_f32_e32 v116, 0x3f575c64, v94
	v_fmac_f32_e32 v96, 0x3e903f40, v87
	v_fmac_f32_e32 v48, 0xbf0a6770, v13
	s_delay_alu instid0(VALU_DEP_4) | instskip(SKIP_2) | instid1(VALU_DEP_2)
	v_add_f32_e32 v25, v99, v25
	v_fmamk_f32 v99, v98, 0xbe11bafb, v102
	v_fmamk_f32 v10, v44, 0xbf0a6770, v116
	v_dual_fmac_f32 v116, 0x3f0a6770, v44 :: v_dual_add_f32 v25, v99, v25
	v_mul_f32_e32 v119, 0x3f0a6770, v100
	s_delay_alu instid0(VALU_DEP_3) | instskip(NEXT) | instid1(VALU_DEP_2)
	v_add_f32_e32 v11, v10, v11
	v_fmamk_f32 v99, v101, 0x3f575c64, v119
	s_delay_alu instid0(VALU_DEP_1) | instskip(SKIP_4) | instid1(VALU_DEP_4)
	v_add_f32_e32 v10, v99, v25
	v_add_f32_e32 v25, v27, v37
	v_mul_f32_e32 v99, 0xbf27a4f4, v15
	v_fmamk_f32 v15, v42, 0x3f575c64, v88
	v_dual_add_f32 v27, v120, v118 :: v_dual_fmamk_f32 v118, v90, 0x3ed4b147, v89
	v_add_f32_e32 v14, v14, v25
	v_add_f32_e32 v25, v36, v85
	s_delay_alu instid0(VALU_DEP_4) | instskip(SKIP_1) | instid1(VALU_DEP_4)
	v_add_f32_e32 v15, v36, v15
	v_fmamk_f32 v85, v40, 0x3f4178ce, v99
	v_dual_fmac_f32 v49, 0xbf68dda4, v12 :: v_dual_add_f32 v14, v51, v14
	s_delay_alu instid0(VALU_DEP_4) | instskip(NEXT) | instid1(VALU_DEP_4)
	v_add_f32_e32 v25, v38, v25
	v_dual_mul_f32 v38, 0xbf7d64f0, v93 :: v_dual_add_f32 v15, v118, v15
	s_delay_alu instid0(VALU_DEP_3) | instskip(NEXT) | instid1(VALU_DEP_3)
	v_dual_mul_f32 v51, 0xbf4178ce, v97 :: v_dual_add_f32 v14, v41, v14
	v_add_f32_e32 v25, v54, v25
	s_delay_alu instid0(VALU_DEP_3) | instskip(SKIP_1) | instid1(VALU_DEP_3)
	v_fmamk_f32 v41, v95, 0xbe11bafb, v38
	v_mul_f32_e32 v54, 0xbf75a155, v94
	v_dual_add_f32 v14, v43, v14 :: v_dual_add_f32 v25, v50, v25
	s_delay_alu instid0(VALU_DEP_3) | instskip(SKIP_1) | instid1(VALU_DEP_3)
	v_add_f32_e32 v15, v41, v15
	v_fmamk_f32 v41, v98, 0xbf27a4f4, v51
	v_dual_mul_f32 v43, 0xbe903f40, v100 :: v_dual_add_f32 v14, v45, v14
	s_delay_alu instid0(VALU_DEP_4) | instskip(SKIP_1) | instid1(VALU_DEP_4)
	v_add_f32_e32 v25, v47, v25
	v_fmamk_f32 v45, v44, 0x3e903f40, v54
	v_add_f32_e32 v41, v41, v15
	s_delay_alu instid0(VALU_DEP_4) | instskip(NEXT) | instid1(VALU_DEP_4)
	v_dual_fmamk_f32 v47, v101, 0xbf75a155, v43 :: v_dual_add_f32 v46, v46, v14
	v_dual_fmac_f32 v54, 0xbe903f40, v44 :: v_dual_add_f32 v25, v78, v25
	s_delay_alu instid0(VALU_DEP_2) | instskip(SKIP_2) | instid1(VALU_DEP_4)
	v_add_f32_e32 v14, v47, v41
	v_fma_f32 v47, 0x3ed4b147, v101, -v112
	v_add_f32_e32 v27, v85, v27
	v_add_f32_e32 v25, v52, v25
	v_fma_f32 v41, 0xbf27a4f4, v42, -v107
	v_fmac_f32_e32 v121, 0xbf7d64f0, v87
	s_delay_alu instid0(VALU_DEP_4) | instskip(SKIP_4) | instid1(VALU_DEP_4)
	v_add_f32_e32 v15, v45, v27
	v_add_f32_e32 v27, v53, v46
	;; [unrolled: 1-line block ×4, first 2 shown]
	v_fma_f32 v46, 0xbe11bafb, v90, -v108
	v_dual_add_f32 v24, v24, v27 :: v_dual_add_f32 v27, v55, v25
	s_delay_alu instid0(VALU_DEP_4) | instskip(NEXT) | instid1(VALU_DEP_2)
	v_add_f32_e32 v45, v104, v45
	v_dual_add_f32 v25, v26, v24 :: v_dual_add_f32 v24, v77, v27
	s_delay_alu instid0(VALU_DEP_4) | instskip(SKIP_1) | instid1(VALU_DEP_4)
	v_add_f32_e32 v26, v46, v41
	v_fma_f32 v27, 0x3f575c64, v95, -v113
	v_add_f32_e32 v41, v103, v45
	v_add_f32_e32 v45, v37, v109
	v_fma_f32 v46, 0x3ed4b147, v42, -v106
	v_fma_f32 v42, 0x3f575c64, v42, -v88
	v_add_f32_e32 v26, v27, v26
	v_fma_f32 v27, 0xbf75a155, v98, -v114
	v_add_f32_e32 v41, v110, v41
	v_add_f32_e32 v39, v39, v45
	v_fma_f32 v45, 0xbf27a4f4, v90, -v115
	s_delay_alu instid0(VALU_DEP_4) | instskip(NEXT) | instid1(VALU_DEP_4)
	v_dual_add_f32 v37, v37, v48 :: v_dual_add_f32 v26, v27, v26
	v_add_f32_e32 v27, v111, v41
	v_add_f32_e32 v41, v36, v46
	;; [unrolled: 1-line block ×3, first 2 shown]
	s_delay_alu instid0(VALU_DEP_4) | instskip(SKIP_1) | instid1(VALU_DEP_4)
	v_dual_add_f32 v37, v49, v37 :: v_dual_add_f32 v26, v47, v26
	v_fmac_f32_e32 v99, 0xbf4178ce, v40
	v_add_f32_e32 v13, v45, v41
	v_fma_f32 v41, 0xbf75a155, v95, -v117
	s_delay_alu instid0(VALU_DEP_4)
	v_add_f32_e32 v37, v121, v37
	v_add_f32_e32 v39, v92, v39
	v_fma_f32 v40, 0x3f575c64, v101, -v119
	v_add_f32_e32 v24, v86, v24
	v_dual_add_f32 v12, v41, v13 :: v_dual_add_f32 v13, v36, v42
	v_fma_f32 v36, 0x3ed4b147, v90, -v89
	v_fma_f32 v41, 0xbe11bafb, v98, -v102
	v_add_f32_e32 v37, v99, v37
	s_delay_alu instid0(VALU_DEP_3)
	v_add_f32_e32 v13, v36, v13
	v_fma_f32 v36, 0xbe11bafb, v95, -v38
	v_mul_u32_u24_e32 v38, 0xb0, v83
	v_add_f32_e32 v12, v41, v12
	v_fma_f32 v41, 0xbf75a155, v101, -v43
	v_add_f32_e32 v37, v54, v37
	v_add_f32_e32 v13, v36, v13
	v_fma_f32 v36, 0xbf27a4f4, v98, -v51
	v_or_b32_e32 v38, v38, v82
	v_add_f32_e32 v12, v40, v12
	s_delay_alu instid0(VALU_DEP_3) | instskip(NEXT) | instid1(VALU_DEP_3)
	v_add_f32_e32 v36, v36, v13
	v_lshl_add_u32 v38, v38, 3, v81
	s_delay_alu instid0(VALU_DEP_2)
	v_dual_add_f32 v13, v116, v39 :: v_dual_add_f32 v36, v41, v36
	ds_store_2addr_b64 v38, v[24:25], v[14:15] offset1:16
	ds_store_2addr_b64 v38, v[10:11], v[8:9] offset0:32 offset1:48
	ds_store_2addr_b64 v38, v[6:7], v[4:5] offset0:64 offset1:80
	;; [unrolled: 1-line block ×4, first 2 shown]
	ds_store_b64 v38, v[36:37] offset:1280
.LBB0_9:
	s_or_b32 exec_lo, exec_lo, s0
	v_add_nc_u32_e32 v36, 0x400, v80
	s_waitcnt lgkmcnt(0)
	s_barrier
	buffer_gl0_inv
	v_add_nc_u32_e32 v38, 0x1000, v80
	ds_load_2addr_b64 v[0:3], v36 offset0:48 offset1:136
	v_add_nc_u32_e32 v37, 0x800, v80
	v_add_nc_u32_e32 v39, 0x1400, v80
	s_mov_b32 s0, 0x29e4129e
	s_mov_b32 s1, 0x3f529e41
	s_waitcnt lgkmcnt(0)
	v_mul_f32_e32 v40, v21, v1
	ds_load_2addr_b64 v[4:7], v37 offset0:96 offset1:184
	ds_load_2addr_b64 v[8:11], v38 offset0:16 offset1:104
	;; [unrolled: 1-line block ×3, first 2 shown]
	ds_load_2addr_b64 v[24:27], v80 offset1:88
	v_mul_f32_e32 v44, v29, v3
	v_mul_f32_e32 v29, v29, v2
	;; [unrolled: 1-line block ×3, first 2 shown]
	v_fmac_f32_e32 v40, v20, v0
	s_delay_alu instid0(VALU_DEP_4) | instskip(NEXT) | instid1(VALU_DEP_3)
	v_fmac_f32_e32 v44, v28, v2
	v_fma_f32 v20, v20, v1, -v21
	s_waitcnt lgkmcnt(3)
	v_mul_f32_e32 v41, v23, v5
	s_waitcnt lgkmcnt(2)
	v_mul_f32_e32 v42, v33, v9
	;; [unrolled: 2-line block ×3, first 2 shown]
	v_mul_f32_e32 v23, v23, v4
	v_mul_f32_e32 v45, v31, v7
	s_waitcnt lgkmcnt(0)
	v_dual_mul_f32 v31, v31, v6 :: v_dual_add_f32 v2, v24, v40
	v_fmac_f32_e32 v42, v32, v8
	v_fmac_f32_e32 v43, v34, v12
	;; [unrolled: 1-line block ×4, first 2 shown]
	v_fma_f32 v21, v22, v5, -v23
	v_fma_f32 v23, v28, v3, -v29
	v_sub_f32_e32 v6, v43, v42
	v_dual_mul_f32 v35, v35, v12 :: v_dual_add_f32 v0, v41, v42
	v_sub_f32_e32 v4, v40, v41
	v_fma_f32 v28, v30, v7, -v31
	v_mul_f32_e32 v29, v17, v11
	s_delay_alu instid0(VALU_DEP_4) | instskip(SKIP_1) | instid1(VALU_DEP_2)
	v_fma_f32 v12, v34, v13, -v35
	v_fma_f32 v0, -0.5, v0, v24
	v_sub_f32_e32 v3, v20, v12
	v_mul_f32_e32 v33, v33, v8
	v_mul_f32_e32 v1, v17, v10
	;; [unrolled: 1-line block ×3, first 2 shown]
	s_delay_alu instid0(VALU_DEP_2) | instskip(SKIP_3) | instid1(VALU_DEP_2)
	v_fma_f32 v30, v16, v11, -v1
	v_dual_add_f32 v1, v2, v41 :: v_dual_fmamk_f32 v2, v3, 0xbf737871, v0
	v_fma_f32 v22, v32, v9, -v33
	v_add_f32_e32 v9, v4, v6
	v_sub_f32_e32 v5, v21, v22
	v_add_f32_e32 v7, v40, v43
	s_delay_alu instid0(VALU_DEP_2) | instskip(NEXT) | instid1(VALU_DEP_2)
	v_dual_add_f32 v11, v21, v22 :: v_dual_fmac_f32 v2, 0xbf167918, v5
	v_fma_f32 v4, -0.5, v7, v24
	v_mul_f32_e32 v13, v19, v15
	v_fmac_f32_e32 v29, v16, v10
	v_fma_f32 v15, v18, v15, -v8
	v_add_f32_e32 v10, v25, v20
	v_fmamk_f32 v8, v5, 0x3f737871, v4
	v_add_f32_e32 v1, v1, v42
	v_dual_sub_f32 v7, v42, v43 :: v_dual_sub_f32 v16, v12, v22
	v_sub_f32_e32 v24, v30, v15
	s_delay_alu instid0(VALU_DEP_3) | instskip(SKIP_3) | instid1(VALU_DEP_2)
	v_add_f32_e32 v6, v1, v43
	v_fmac_f32_e32 v8, 0xbf167918, v3
	v_dual_fmac_f32 v4, 0xbf737871, v5 :: v_dual_sub_f32 v1, v41, v40
	v_fmac_f32_e32 v0, 0x3f737871, v3
	v_fmac_f32_e32 v4, 0x3f167918, v3
	s_delay_alu instid0(VALU_DEP_2) | instskip(SKIP_1) | instid1(VALU_DEP_2)
	v_dual_add_f32 v7, v1, v7 :: v_dual_fmac_f32 v0, 0x3f167918, v5
	v_dual_add_f32 v5, v10, v21 :: v_dual_sub_f32 v10, v41, v42
	v_fmac_f32_e32 v4, 0x3e9e377a, v7
	v_fmac_f32_e32 v8, 0x3e9e377a, v7
	v_dual_fmac_f32 v2, 0x3e9e377a, v9 :: v_dual_fmac_f32 v13, v18, v14
	v_sub_f32_e32 v14, v20, v21
	v_fma_f32 v1, -0.5, v11, v25
	v_dual_sub_f32 v11, v40, v43 :: v_dual_fmac_f32 v0, 0x3e9e377a, v9
	s_delay_alu instid0(VALU_DEP_3) | instskip(SKIP_1) | instid1(VALU_DEP_3)
	v_dual_add_f32 v9, v5, v22 :: v_dual_add_f32 v14, v14, v16
	v_add_f32_e32 v5, v20, v12
	v_dual_fmamk_f32 v3, v11, 0x3f737871, v1 :: v_dual_sub_f32 v16, v21, v20
	s_delay_alu instid0(VALU_DEP_3) | instskip(NEXT) | instid1(VALU_DEP_2)
	v_dual_add_f32 v7, v9, v12 :: v_dual_sub_f32 v18, v28, v30
	v_dual_sub_f32 v12, v22, v12 :: v_dual_fmac_f32 v3, 0x3f167918, v10
	s_delay_alu instid0(VALU_DEP_4) | instskip(SKIP_1) | instid1(VALU_DEP_3)
	v_fma_f32 v5, -0.5, v5, v25
	v_fmac_f32_e32 v1, 0xbf737871, v11
	v_dual_add_f32 v17, v45, v29 :: v_dual_add_f32 v16, v16, v12
	s_delay_alu instid0(VALU_DEP_4) | instskip(NEXT) | instid1(VALU_DEP_4)
	v_dual_fmac_f32 v3, 0x3e9e377a, v14 :: v_dual_add_f32 v20, v44, v13
	v_fmamk_f32 v9, v10, 0xbf737871, v5
	v_dual_fmac_f32 v5, 0x3f737871, v10 :: v_dual_add_f32 v12, v26, v44
	v_fmac_f32_e32 v1, 0xbf167918, v10
	v_fma_f32 v10, -0.5, v17, v26
	v_fma_f32 v26, -0.5, v20, v26
	v_sub_f32_e32 v17, v23, v15
	v_dual_fmac_f32 v5, 0xbf167918, v11 :: v_dual_sub_f32 v20, v29, v13
	v_dual_fmac_f32 v1, 0x3e9e377a, v14 :: v_dual_sub_f32 v14, v44, v45
	v_fmac_f32_e32 v9, 0x3f167918, v11
	s_delay_alu instid0(VALU_DEP_4) | instskip(SKIP_3) | instid1(VALU_DEP_3)
	v_dual_add_f32 v11, v12, v45 :: v_dual_fmamk_f32 v12, v17, 0xbf737871, v10
	v_sub_f32_e32 v19, v13, v29
	v_fmac_f32_e32 v10, 0x3f737871, v17
	v_dual_fmac_f32 v5, 0x3e9e377a, v16 :: v_dual_sub_f32 v22, v15, v30
	v_dual_fmac_f32 v12, 0xbf167918, v18 :: v_dual_add_f32 v19, v14, v19
	s_delay_alu instid0(VALU_DEP_3)
	v_fmac_f32_e32 v10, 0x3f167918, v18
	v_fmac_f32_e32 v9, 0x3e9e377a, v16
	v_fmamk_f32 v16, v18, 0x3f737871, v26
	v_fmac_f32_e32 v26, 0xbf737871, v18
	v_add_f32_e32 v18, v27, v23
	ds_store_b64 v80, v[6:7]
	v_add_nc_u32_e32 v6, 0x400, v84
	v_fmac_f32_e32 v16, 0xbf167918, v17
	v_fmac_f32_e32 v10, 0x3e9e377a, v19
	v_dual_fmac_f32 v12, 0x3e9e377a, v19 :: v_dual_sub_f32 v19, v45, v44
	v_dual_fmac_f32 v26, 0x3f167918, v17 :: v_dual_add_f32 v17, v18, v28
	v_dual_add_f32 v18, v23, v15 :: v_dual_add_nc_u32 v7, 0x1000, v84
	s_delay_alu instid0(VALU_DEP_3) | instskip(SKIP_1) | instid1(VALU_DEP_2)
	v_dual_add_f32 v19, v19, v20 :: v_dual_sub_f32 v20, v45, v29
	v_add_f32_e32 v11, v11, v29
	v_dual_sub_f32 v21, v44, v13 :: v_dual_fmac_f32 v26, 0x3e9e377a, v19
	v_fmac_f32_e32 v16, 0x3e9e377a, v19
	s_delay_alu instid0(VALU_DEP_3) | instskip(NEXT) | instid1(VALU_DEP_1)
	v_dual_add_f32 v14, v11, v13 :: v_dual_add_f32 v11, v28, v30
	v_fma_f32 v11, -0.5, v11, v27
	v_dual_fmac_f32 v27, -0.5, v18 :: v_dual_sub_f32 v18, v23, v28
	v_sub_f32_e32 v23, v28, v23
	s_delay_alu instid0(VALU_DEP_3) | instskip(NEXT) | instid1(VALU_DEP_3)
	v_fmamk_f32 v13, v21, 0x3f737871, v11
	v_dual_fmac_f32 v11, 0xbf737871, v21 :: v_dual_add_f32 v18, v18, v22
	s_delay_alu instid0(VALU_DEP_2) | instskip(NEXT) | instid1(VALU_DEP_2)
	v_fmac_f32_e32 v13, 0x3f167918, v20
	v_fmac_f32_e32 v11, 0xbf167918, v20
	s_delay_alu instid0(VALU_DEP_2) | instskip(NEXT) | instid1(VALU_DEP_2)
	v_fmac_f32_e32 v13, 0x3e9e377a, v18
	v_fmac_f32_e32 v11, 0x3e9e377a, v18
	v_dual_add_f32 v19, v17, v30 :: v_dual_add_nc_u32 v18, 0x1000, v91
	v_fmamk_f32 v17, v20, 0xbf737871, v27
	v_fmac_f32_e32 v27, 0x3f737871, v20
	v_add_f32_e32 v20, v23, v24
	s_delay_alu instid0(VALU_DEP_4) | instskip(NEXT) | instid1(VALU_DEP_4)
	v_add_f32_e32 v15, v19, v15
	v_fmac_f32_e32 v17, 0x3f167918, v21
	s_delay_alu instid0(VALU_DEP_4) | instskip(NEXT) | instid1(VALU_DEP_2)
	v_fmac_f32_e32 v27, 0xbf167918, v21
	v_fmac_f32_e32 v17, 0x3e9e377a, v20
	s_delay_alu instid0(VALU_DEP_2)
	v_fmac_f32_e32 v27, 0x3e9e377a, v20
	ds_store_2addr_b64 v36, v[2:3], v[8:9] offset0:48 offset1:224
	ds_store_2addr_b64 v18, v[4:5], v[0:1] offset0:16 offset1:192
	ds_store_b64 v80, v[14:15] offset:704
	ds_store_2addr_b64 v6, v[12:13], v[16:17] offset0:48 offset1:224
	ds_store_2addr_b64 v7, v[26:27], v[10:11] offset0:16 offset1:192
	s_waitcnt lgkmcnt(0)
	s_barrier
	buffer_gl0_inv
	ds_load_2addr_b64 v[0:3], v80 offset1:88
	v_mad_u64_u32 v[20:21], null, s6, v56, 0
	s_waitcnt lgkmcnt(0)
	v_mul_f32_e32 v5, v76, v0
	v_mul_f32_e32 v4, v76, v1
	;; [unrolled: 1-line block ×3, first 2 shown]
	s_delay_alu instid0(VALU_DEP_3) | instskip(NEXT) | instid1(VALU_DEP_3)
	v_fma_f32 v5, v75, v1, -v5
	v_fmac_f32_e32 v4, v75, v0
	s_delay_alu instid0(VALU_DEP_3) | instskip(SKIP_1) | instid1(VALU_DEP_4)
	v_fmac_f32_e32 v28, v57, v2
	v_mul_f32_e32 v2, v58, v2
	v_cvt_f64_f32_e32 v[16:17], v5
	s_delay_alu instid0(VALU_DEP_4)
	v_cvt_f64_f32_e32 v[0:1], v4
	ds_load_2addr_b64 v[4:7], v37 offset0:96 offset1:184
	ds_load_2addr_b64 v[8:11], v38 offset0:16 offset1:104
	;; [unrolled: 1-line block ×3, first 2 shown]
	v_fma_f32 v2, v57, v3, -v2
	v_cvt_f64_f32_e32 v[28:29], v28
	s_delay_alu instid0(VALU_DEP_2)
	v_cvt_f64_f32_e32 v[2:3], v2
	s_waitcnt lgkmcnt(1)
	v_mul_f32_e32 v30, v74, v9
	s_waitcnt lgkmcnt(0)
	v_dual_mul_f32 v19, v66, v6 :: v_dual_mul_f32 v36, v64, v15
	v_mul_f32_e32 v31, v74, v8
	v_mul_f32_e32 v18, v66, v7
	v_fmac_f32_e32 v30, v73, v8
	v_mul_f32_e32 v32, v60, v13
	v_fmac_f32_e32 v36, v63, v14
	v_fma_f32 v31, v73, v9, -v31
	v_fmac_f32_e32 v18, v65, v6
	v_cvt_f64_f32_e32 v[8:9], v30
	v_dual_mul_f32 v33, v60, v12 :: v_dual_mul_f32 v40, v70, v5
	v_dual_fmac_f32 v32, v59, v12 :: v_dual_mul_f32 v35, v68, v10
	s_delay_alu instid0(VALU_DEP_4)
	v_cvt_f64_f32_e32 v[24:25], v18
	v_mul_f64 v[22:23], v[16:17], s[0:1]
	v_fma_f32 v16, v65, v7, -v19
	v_mad_u64_u32 v[6:7], null, s4, v79, 0
	v_mul_f32_e32 v34, v68, v11
	v_fma_f32 v33, v59, v13, -v33
	s_delay_alu instid0(VALU_DEP_4)
	v_cvt_f64_f32_e32 v[26:27], v16
	ds_load_2addr_b64 v[16:19], v39 offset0:64 offset1:152
	v_cvt_f64_f32_e32 v[12:13], v31
	v_dual_mul_f32 v41, v70, v4 :: v_dual_fmac_f32 v34, v67, v10
	v_fma_f32 v35, v67, v11, -v35
	v_mul_f64 v[0:1], v[0:1], s[0:1]
	v_cvt_f64_f32_e32 v[30:31], v32
	v_cvt_f64_f32_e32 v[32:33], v33
	;; [unrolled: 1-line block ×3, first 2 shown]
	v_mul_f64 v[28:29], v[28:29], s[0:1]
	v_mul_f64 v[2:3], v[2:3], s[0:1]
	s_waitcnt lgkmcnt(0)
	v_mul_f32_e32 v42, v72, v19
	v_dual_mul_f32 v38, v62, v17 :: v_dual_mul_f32 v37, v64, v14
	v_mul_f32_e32 v43, v72, v18
	v_fma_f32 v41, v69, v5, -v41
	s_delay_alu instid0(VALU_DEP_3)
	v_fmac_f32_e32 v38, v61, v16
	v_mul_f32_e32 v16, v62, v16
	v_fma_f32 v37, v63, v15, -v37
	v_fma_f32 v43, v71, v19, -v43
	v_cvt_f64_f32_e32 v[14:15], v35
	v_mad_u64_u32 v[44:45], null, s7, v56, v[21:22]
	v_mad_u64_u32 v[45:46], null, s5, v79, v[7:8]
	v_fma_f32 v16, v61, v17, -v16
	v_fmac_f32_e32 v40, v69, v4
	v_fmac_f32_e32 v42, v71, v18
	v_cvt_f64_f32_e32 v[34:35], v36
	v_cvt_f64_f32_e32 v[36:37], v37
	;; [unrolled: 1-line block ×3, first 2 shown]
	v_mov_b32_e32 v7, v45
	v_cvt_f64_f32_e32 v[4:5], v16
	v_cvt_f64_f32_e32 v[18:19], v41
	v_mov_b32_e32 v21, v44
	v_cvt_f64_f32_e32 v[16:17], v40
	v_cvt_f64_f32_e32 v[40:41], v42
	;; [unrolled: 1-line block ×3, first 2 shown]
	v_mul_f64 v[24:25], v[24:25], s[0:1]
	v_mul_f64 v[26:27], v[26:27], s[0:1]
	v_lshlrev_b64 v[20:21], 3, v[20:21]
	v_mul_f64 v[8:9], v[8:9], s[0:1]
	v_mul_f64 v[12:13], v[12:13], s[0:1]
	v_cvt_f32_f64_e32 v0, v[0:1]
	v_cvt_f32_f64_e32 v1, v[22:23]
	v_mul_f64 v[22:23], v[32:33], s[0:1]
	v_add_co_u32 v44, vcc_lo, s2, v20
	v_add_co_ci_u32_e32 v45, vcc_lo, s3, v21, vcc_lo
	v_mul_f64 v[20:21], v[30:31], s[0:1]
	v_mul_f64 v[10:11], v[10:11], s[0:1]
	v_lshlrev_b64 v[6:7], 3, v[6:7]
	v_cvt_f32_f64_e32 v28, v[28:29]
	v_cvt_f32_f64_e32 v29, v[2:3]
	s_mul_hi_u32 s2, s4, 0xfffff500
	s_mul_i32 s3, s5, 0xfffff500
	s_sub_i32 s2, s2, s4
	v_mul_f64 v[14:15], v[14:15], s[0:1]
	v_add_co_u32 v6, vcc_lo, v44, v6
	v_add_co_ci_u32_e32 v7, vcc_lo, v45, v7, vcc_lo
	s_add_i32 s2, s2, s3
	s_mul_i32 s3, s4, 0xfffff500
	v_mul_f64 v[30:31], v[34:35], s[0:1]
	v_mul_f64 v[32:33], v[36:37], s[0:1]
	v_mul_f64 v[34:35], v[38:39], s[0:1]
	v_mul_f64 v[4:5], v[4:5], s[0:1]
	v_mul_f64 v[18:19], v[18:19], s[0:1]
	v_mul_f64 v[16:17], v[16:17], s[0:1]
	v_mul_f64 v[36:37], v[40:41], s[0:1]
	v_mul_f64 v[38:39], v[42:43], s[0:1]
	v_cvt_f32_f64_e32 v24, v[24:25]
	v_cvt_f32_f64_e32 v25, v[26:27]
	s_mul_i32 s0, s5, 0xdc0
	s_mul_hi_u32 s1, s4, 0xdc0
	v_cvt_f32_f64_e32 v2, v[8:9]
	v_cvt_f32_f64_e32 v3, v[12:13]
	s_add_i32 s1, s1, s0
	s_mul_i32 s0, s4, 0xdc0
	v_cvt_f32_f64_e32 v13, v[22:23]
	v_add_co_u32 v26, vcc_lo, v6, s0
	v_add_co_ci_u32_e32 v27, vcc_lo, s1, v7, vcc_lo
	v_cvt_f32_f64_e32 v12, v[20:21]
	s_delay_alu instid0(VALU_DEP_3) | instskip(SKIP_1) | instid1(VALU_DEP_4)
	v_add_co_u32 v8, vcc_lo, v26, s3
	v_cvt_f32_f64_e32 v10, v[10:11]
	v_add_co_ci_u32_e32 v9, vcc_lo, s2, v27, vcc_lo
	global_store_b64 v[6:7], v[0:1], off
	v_cvt_f32_f64_e32 v11, v[14:15]
	v_cvt_f32_f64_e32 v14, v[30:31]
	;; [unrolled: 1-line block ×6, first 2 shown]
	v_add_co_u32 v18, vcc_lo, v8, s0
	v_cvt_f32_f64_e32 v4, v[16:17]
	v_cvt_f32_f64_e32 v16, v[36:37]
	;; [unrolled: 1-line block ×3, first 2 shown]
	v_add_co_ci_u32_e32 v19, vcc_lo, s1, v9, vcc_lo
	v_add_co_u32 v22, vcc_lo, v18, s3
	global_store_b64 v[26:27], v[24:25], off
	v_add_co_ci_u32_e32 v23, vcc_lo, s2, v19, vcc_lo
	v_add_co_u32 v0, vcc_lo, v22, s0
	global_store_b64 v[8:9], v[28:29], off
	;; [unrolled: 3-line block ×4, first 2 shown]
	v_add_co_ci_u32_e32 v9, vcc_lo, s1, v7, vcc_lo
	v_add_co_u32 v2, vcc_lo, v8, s3
	s_delay_alu instid0(VALU_DEP_2) | instskip(NEXT) | instid1(VALU_DEP_2)
	v_add_co_ci_u32_e32 v3, vcc_lo, s2, v9, vcc_lo
	v_add_co_u32 v12, vcc_lo, v2, s0
	s_delay_alu instid0(VALU_DEP_2)
	v_add_co_ci_u32_e32 v13, vcc_lo, s1, v3, vcc_lo
	global_store_b64 v[0:1], v[10:11], off
	global_store_b64 v[6:7], v[14:15], off
	;; [unrolled: 1-line block ×5, first 2 shown]
.LBB0_10:
	s_nop 0
	s_sendmsg sendmsg(MSG_DEALLOC_VGPRS)
	s_endpgm
	.section	.rodata,"a",@progbits
	.p2align	6, 0x0
	.amdhsa_kernel bluestein_single_fwd_len880_dim1_sp_op_CI_CI
		.amdhsa_group_segment_fixed_size 14080
		.amdhsa_private_segment_fixed_size 0
		.amdhsa_kernarg_size 104
		.amdhsa_user_sgpr_count 15
		.amdhsa_user_sgpr_dispatch_ptr 0
		.amdhsa_user_sgpr_queue_ptr 0
		.amdhsa_user_sgpr_kernarg_segment_ptr 1
		.amdhsa_user_sgpr_dispatch_id 0
		.amdhsa_user_sgpr_private_segment_size 0
		.amdhsa_wavefront_size32 1
		.amdhsa_uses_dynamic_stack 0
		.amdhsa_enable_private_segment 0
		.amdhsa_system_sgpr_workgroup_id_x 1
		.amdhsa_system_sgpr_workgroup_id_y 0
		.amdhsa_system_sgpr_workgroup_id_z 0
		.amdhsa_system_sgpr_workgroup_info 0
		.amdhsa_system_vgpr_workitem_id 0
		.amdhsa_next_free_vgpr 167
		.amdhsa_next_free_sgpr 20
		.amdhsa_reserve_vcc 1
		.amdhsa_float_round_mode_32 0
		.amdhsa_float_round_mode_16_64 0
		.amdhsa_float_denorm_mode_32 3
		.amdhsa_float_denorm_mode_16_64 3
		.amdhsa_dx10_clamp 1
		.amdhsa_ieee_mode 1
		.amdhsa_fp16_overflow 0
		.amdhsa_workgroup_processor_mode 1
		.amdhsa_memory_ordered 1
		.amdhsa_forward_progress 0
		.amdhsa_shared_vgpr_count 0
		.amdhsa_exception_fp_ieee_invalid_op 0
		.amdhsa_exception_fp_denorm_src 0
		.amdhsa_exception_fp_ieee_div_zero 0
		.amdhsa_exception_fp_ieee_overflow 0
		.amdhsa_exception_fp_ieee_underflow 0
		.amdhsa_exception_fp_ieee_inexact 0
		.amdhsa_exception_int_div_zero 0
	.end_amdhsa_kernel
	.text
.Lfunc_end0:
	.size	bluestein_single_fwd_len880_dim1_sp_op_CI_CI, .Lfunc_end0-bluestein_single_fwd_len880_dim1_sp_op_CI_CI
                                        ; -- End function
	.section	.AMDGPU.csdata,"",@progbits
; Kernel info:
; codeLenInByte = 12536
; NumSgprs: 22
; NumVgprs: 167
; ScratchSize: 0
; MemoryBound: 0
; FloatMode: 240
; IeeeMode: 1
; LDSByteSize: 14080 bytes/workgroup (compile time only)
; SGPRBlocks: 2
; VGPRBlocks: 20
; NumSGPRsForWavesPerEU: 22
; NumVGPRsForWavesPerEU: 167
; Occupancy: 9
; WaveLimiterHint : 1
; COMPUTE_PGM_RSRC2:SCRATCH_EN: 0
; COMPUTE_PGM_RSRC2:USER_SGPR: 15
; COMPUTE_PGM_RSRC2:TRAP_HANDLER: 0
; COMPUTE_PGM_RSRC2:TGID_X_EN: 1
; COMPUTE_PGM_RSRC2:TGID_Y_EN: 0
; COMPUTE_PGM_RSRC2:TGID_Z_EN: 0
; COMPUTE_PGM_RSRC2:TIDIG_COMP_CNT: 0
	.text
	.p2alignl 7, 3214868480
	.fill 96, 4, 3214868480
	.type	__hip_cuid_938317c15890f5b3,@object ; @__hip_cuid_938317c15890f5b3
	.section	.bss,"aw",@nobits
	.globl	__hip_cuid_938317c15890f5b3
__hip_cuid_938317c15890f5b3:
	.byte	0                               ; 0x0
	.size	__hip_cuid_938317c15890f5b3, 1

	.ident	"AMD clang version 19.0.0git (https://github.com/RadeonOpenCompute/llvm-project roc-6.4.0 25133 c7fe45cf4b819c5991fe208aaa96edf142730f1d)"
	.section	".note.GNU-stack","",@progbits
	.addrsig
	.addrsig_sym __hip_cuid_938317c15890f5b3
	.amdgpu_metadata
---
amdhsa.kernels:
  - .args:
      - .actual_access:  read_only
        .address_space:  global
        .offset:         0
        .size:           8
        .value_kind:     global_buffer
      - .actual_access:  read_only
        .address_space:  global
        .offset:         8
        .size:           8
        .value_kind:     global_buffer
      - .actual_access:  read_only
        .address_space:  global
        .offset:         16
        .size:           8
        .value_kind:     global_buffer
      - .actual_access:  read_only
        .address_space:  global
        .offset:         24
        .size:           8
        .value_kind:     global_buffer
      - .actual_access:  read_only
        .address_space:  global
        .offset:         32
        .size:           8
        .value_kind:     global_buffer
      - .offset:         40
        .size:           8
        .value_kind:     by_value
      - .address_space:  global
        .offset:         48
        .size:           8
        .value_kind:     global_buffer
      - .address_space:  global
        .offset:         56
        .size:           8
        .value_kind:     global_buffer
      - .address_space:  global
        .offset:         64
        .size:           8
        .value_kind:     global_buffer
      - .address_space:  global
        .offset:         72
        .size:           8
        .value_kind:     global_buffer
      - .offset:         80
        .size:           4
        .value_kind:     by_value
      - .address_space:  global
        .offset:         88
        .size:           8
        .value_kind:     global_buffer
      - .address_space:  global
        .offset:         96
        .size:           8
        .value_kind:     global_buffer
    .group_segment_fixed_size: 14080
    .kernarg_segment_align: 8
    .kernarg_segment_size: 104
    .language:       OpenCL C
    .language_version:
      - 2
      - 0
    .max_flat_workgroup_size: 176
    .name:           bluestein_single_fwd_len880_dim1_sp_op_CI_CI
    .private_segment_fixed_size: 0
    .sgpr_count:     22
    .sgpr_spill_count: 0
    .symbol:         bluestein_single_fwd_len880_dim1_sp_op_CI_CI.kd
    .uniform_work_group_size: 1
    .uses_dynamic_stack: false
    .vgpr_count:     167
    .vgpr_spill_count: 0
    .wavefront_size: 32
    .workgroup_processor_mode: 1
amdhsa.target:   amdgcn-amd-amdhsa--gfx1100
amdhsa.version:
  - 1
  - 2
...

	.end_amdgpu_metadata
